;; amdgpu-corpus repo=ROCm/rocFFT kind=compiled arch=gfx1030 opt=O3
	.text
	.amdgcn_target "amdgcn-amd-amdhsa--gfx1030"
	.amdhsa_code_object_version 6
	.protected	bluestein_single_back_len539_dim1_half_op_CI_CI ; -- Begin function bluestein_single_back_len539_dim1_half_op_CI_CI
	.globl	bluestein_single_back_len539_dim1_half_op_CI_CI
	.p2align	8
	.type	bluestein_single_back_len539_dim1_half_op_CI_CI,@function
bluestein_single_back_len539_dim1_half_op_CI_CI: ; @bluestein_single_back_len539_dim1_half_op_CI_CI
; %bb.0:
	s_load_dwordx4 s[0:3], s[4:5], 0x28
	v_mul_u32_u24_e32 v1, 0x354, v0
	v_lshrrev_b32_e32 v1, 16, v1
	v_mad_u64_u32 v[8:9], null, s6, 3, v[1:2]
	v_mov_b32_e32 v9, 0
	s_waitcnt lgkmcnt(0)
	v_cmp_gt_u64_e32 vcc_lo, s[0:1], v[8:9]
	s_and_saveexec_b32 s0, vcc_lo
	s_cbranch_execz .LBB0_15
; %bb.1:
	v_mul_hi_u32 v2, 0xaaaaaaab, v8
	s_clause 0x1
	s_load_dwordx2 s[20:21], s[4:5], 0x0
	s_load_dwordx2 s[12:13], s[4:5], 0x38
	v_mul_lo_u16 v1, 0x4d, v1
	v_sub_nc_u16 v0, v0, v1
	v_lshrrev_b32_e32 v2, 1, v2
	v_and_b32_e32 v24, 0xffff, v0
	v_lshl_add_u32 v2, v2, 1, v2
	v_cmp_gt_u16_e32 vcc_lo, 49, v0
	v_lshlrev_b32_e32 v23, 2, v24
	v_sub_nc_u32_e32 v1, v8, v2
	v_mul_u32_u24_e32 v11, 0x21b, v1
	v_lshlrev_b32_e32 v25, 2, v11
	s_and_saveexec_b32 s1, vcc_lo
	s_cbranch_execz .LBB0_3
; %bb.2:
	s_load_dwordx2 s[6:7], s[4:5], 0x18
	v_lshl_add_u32 v30, v24, 2, v25
	v_add_nc_u32_e32 v28, v25, v23
	v_add_nc_u32_e32 v33, 0x200, v28
	s_waitcnt lgkmcnt(0)
	s_load_dwordx4 s[8:11], s[6:7], 0x0
	s_waitcnt lgkmcnt(0)
	v_mad_u64_u32 v[0:1], null, s10, v8, 0
	v_mad_u64_u32 v[2:3], null, s8, v24, 0
	s_mul_i32 s6, s9, 0xc4
	s_mul_hi_u32 s7, s8, 0xc4
	s_add_i32 s7, s7, s6
	v_mad_u64_u32 v[4:5], null, s11, v8, v[1:2]
	v_mad_u64_u32 v[5:6], null, s9, v24, v[3:4]
	v_mov_b32_e32 v1, v4
	v_lshlrev_b64 v[0:1], 2, v[0:1]
	v_mov_b32_e32 v3, v5
	s_clause 0x1
	global_load_dword v4, v23, s[20:21]
	global_load_dword v5, v23, s[20:21] offset:196
	v_add_co_u32 v0, s0, s2, v0
	v_lshlrev_b64 v[2:3], 2, v[2:3]
	v_add_co_ci_u32_e64 v1, s0, s3, v1, s0
	s_mul_i32 s2, s8, 0xc4
	v_add_co_u32 v0, s0, v0, v2
	v_add_co_ci_u32_e64 v1, s0, v1, v3, s0
	v_add_co_u32 v2, s0, v0, s2
	v_add_co_ci_u32_e64 v3, s0, s7, v1, s0
	s_clause 0x1
	global_load_dword v6, v[0:1], off
	global_load_dword v7, v[2:3], off
	v_add_co_u32 v0, s0, v2, s2
	v_add_co_ci_u32_e64 v1, s0, s7, v3, s0
	v_add_co_u32 v2, s0, v0, s2
	v_add_co_ci_u32_e64 v3, s0, s7, v1, s0
	global_load_dword v9, v[0:1], off
	v_add_co_u32 v0, s0, v2, s2
	v_add_co_ci_u32_e64 v1, s0, s7, v3, s0
	s_clause 0x1
	global_load_dword v10, v23, s[20:21] offset:392
	global_load_dword v12, v23, s[20:21] offset:588
	s_clause 0x1
	global_load_dword v13, v[2:3], off
	global_load_dword v14, v[0:1], off
	v_add_co_u32 v0, s0, v0, s2
	v_add_co_ci_u32_e64 v1, s0, s7, v1, s0
	s_clause 0x3
	global_load_dword v15, v23, s[20:21] offset:784
	global_load_dword v16, v23, s[20:21] offset:980
	;; [unrolled: 1-line block ×4, first 2 shown]
	v_add_co_u32 v2, s0, v0, s2
	v_add_co_ci_u32_e64 v3, s0, s7, v1, s0
	global_load_dword v19, v[0:1], off
	v_add_co_u32 v0, s0, v2, s2
	v_add_co_ci_u32_e64 v1, s0, s7, v3, s0
	global_load_dword v20, v[2:3], off
	v_add_co_u32 v2, s0, v0, s2
	v_add_co_ci_u32_e64 v3, s0, s7, v1, s0
	global_load_dword v21, v[0:1], off
	v_add_co_u32 v0, s0, v2, s2
	v_add_co_ci_u32_e64 v1, s0, s7, v3, s0
	global_load_dword v22, v[2:3], off
	v_add_co_u32 v2, s0, v0, s2
	v_add_co_ci_u32_e64 v3, s0, s7, v1, s0
	global_load_dword v26, v23, s[20:21] offset:1568
	global_load_dword v0, v[0:1], off
	global_load_dword v1, v[2:3], off
	s_clause 0x1
	global_load_dword v2, v23, s[20:21] offset:1764
	global_load_dword v3, v23, s[20:21] offset:1960
	s_waitcnt vmcnt(19)
	v_lshrrev_b32_e32 v27, 16, v6
	v_mul_f16_sdwa v29, v4, v6 dst_sel:DWORD dst_unused:UNUSED_PAD src0_sel:WORD_1 src1_sel:DWORD
	s_waitcnt vmcnt(18)
	v_lshrrev_b32_e32 v32, 16, v7
	v_mul_f16_sdwa v31, v4, v27 dst_sel:DWORD dst_unused:UNUSED_PAD src0_sel:WORD_1 src1_sel:DWORD
	v_fma_f16 v27, v4, v27, -v29
	v_mul_f16_sdwa v29, v5, v7 dst_sel:DWORD dst_unused:UNUSED_PAD src0_sel:WORD_1 src1_sel:DWORD
	v_fmac_f16_e32 v31, v4, v6
	v_mul_f16_sdwa v4, v5, v32 dst_sel:DWORD dst_unused:UNUSED_PAD src0_sel:WORD_1 src1_sel:DWORD
	v_fma_f16 v29, v5, v32, -v29
	s_waitcnt vmcnt(17)
	v_lshrrev_b32_e32 v6, 16, v9
	s_waitcnt vmcnt(16)
	v_mul_f16_sdwa v34, v10, v9 dst_sel:DWORD dst_unused:UNUSED_PAD src0_sel:WORD_1 src1_sel:DWORD
	v_fmac_f16_e32 v4, v5, v7
	s_waitcnt vmcnt(14)
	v_lshrrev_b32_e32 v7, 16, v13
	v_mul_f16_sdwa v5, v10, v6 dst_sel:DWORD dst_unused:UNUSED_PAD src0_sel:WORD_1 src1_sel:DWORD
	v_pack_b32_f16 v27, v31, v27
	v_fma_f16 v6, v10, v6, -v34
	v_mul_f16_sdwa v31, v12, v13 dst_sel:DWORD dst_unused:UNUSED_PAD src0_sel:WORD_1 src1_sel:DWORD
	v_pack_b32_f16 v4, v4, v29
	v_fmac_f16_e32 v5, v10, v9
	s_waitcnt vmcnt(13)
	v_lshrrev_b32_e32 v10, 16, v14
	v_mul_f16_sdwa v9, v12, v7 dst_sel:DWORD dst_unused:UNUSED_PAD src0_sel:WORD_1 src1_sel:DWORD
	ds_write_b32 v30, v27
	s_waitcnt vmcnt(12)
	v_mul_f16_sdwa v27, v15, v14 dst_sel:DWORD dst_unused:UNUSED_PAD src0_sel:WORD_1 src1_sel:DWORD
	v_pack_b32_f16 v5, v5, v6
	v_mul_f16_sdwa v6, v15, v10 dst_sel:DWORD dst_unused:UNUSED_PAD src0_sel:WORD_1 src1_sel:DWORD
	v_fma_f16 v7, v12, v7, -v31
	v_fmac_f16_e32 v9, v12, v13
	s_waitcnt vmcnt(8)
	v_lshrrev_b32_e32 v12, 16, v19
	v_fma_f16 v10, v15, v10, -v27
	v_mul_f16_sdwa v13, v16, v19 dst_sel:DWORD dst_unused:UNUSED_PAD src0_sel:WORD_1 src1_sel:DWORD
	v_fmac_f16_e32 v6, v15, v14
	s_waitcnt vmcnt(7)
	v_lshrrev_b32_e32 v14, 16, v20
	v_pack_b32_f16 v7, v9, v7
	v_mul_f16_sdwa v9, v16, v12 dst_sel:DWORD dst_unused:UNUSED_PAD src0_sel:WORD_1 src1_sel:DWORD
	v_fma_f16 v12, v16, v12, -v13
	v_mul_f16_sdwa v13, v17, v20 dst_sel:DWORD dst_unused:UNUSED_PAD src0_sel:WORD_1 src1_sel:DWORD
	v_pack_b32_f16 v6, v6, v10
	v_mul_f16_sdwa v10, v17, v14 dst_sel:DWORD dst_unused:UNUSED_PAD src0_sel:WORD_1 src1_sel:DWORD
	v_fmac_f16_e32 v9, v16, v19
	s_waitcnt vmcnt(6)
	v_lshrrev_b32_e32 v15, 16, v21
	v_mul_f16_sdwa v16, v18, v21 dst_sel:DWORD dst_unused:UNUSED_PAD src0_sel:WORD_1 src1_sel:DWORD
	v_fma_f16 v13, v17, v14, -v13
	v_fmac_f16_e32 v10, v17, v20
	v_pack_b32_f16 v9, v9, v12
	v_mul_f16_sdwa v12, v18, v15 dst_sel:DWORD dst_unused:UNUSED_PAD src0_sel:WORD_1 src1_sel:DWORD
	v_fma_f16 v14, v18, v15, -v16
	s_waitcnt vmcnt(5)
	v_lshrrev_b32_e32 v15, 16, v22
	s_waitcnt vmcnt(4)
	v_mul_f16_sdwa v16, v26, v22 dst_sel:DWORD dst_unused:UNUSED_PAD src0_sel:WORD_1 src1_sel:DWORD
	v_pack_b32_f16 v10, v10, v13
	s_waitcnt vmcnt(3)
	v_lshrrev_b32_e32 v13, 16, v0
	s_waitcnt vmcnt(2)
	v_lshrrev_b32_e32 v17, 16, v1
	v_fmac_f16_e32 v12, v18, v21
	v_mul_f16_sdwa v18, v26, v15 dst_sel:DWORD dst_unused:UNUSED_PAD src0_sel:WORD_1 src1_sel:DWORD
	v_fma_f16 v15, v26, v15, -v16
	s_waitcnt vmcnt(1)
	v_mul_f16_sdwa v16, v2, v0 dst_sel:DWORD dst_unused:UNUSED_PAD src0_sel:WORD_1 src1_sel:DWORD
	v_mul_f16_sdwa v19, v2, v13 dst_sel:DWORD dst_unused:UNUSED_PAD src0_sel:WORD_1 src1_sel:DWORD
	s_waitcnt vmcnt(0)
	v_mul_f16_sdwa v20, v3, v17 dst_sel:DWORD dst_unused:UNUSED_PAD src0_sel:WORD_1 src1_sel:DWORD
	v_mul_f16_sdwa v21, v3, v1 dst_sel:DWORD dst_unused:UNUSED_PAD src0_sel:WORD_1 src1_sel:DWORD
	v_fmac_f16_e32 v18, v26, v22
	v_fma_f16 v13, v2, v13, -v16
	v_fmac_f16_e32 v19, v2, v0
	v_fmac_f16_e32 v20, v3, v1
	v_fma_f16 v0, v3, v17, -v21
	v_pack_b32_f16 v1, v12, v14
	v_pack_b32_f16 v2, v18, v15
	v_add_nc_u32_e32 v3, 0x400, v28
	v_pack_b32_f16 v12, v19, v13
	v_pack_b32_f16 v0, v20, v0
	ds_write2_b32 v28, v4, v5 offset0:49 offset1:98
	ds_write2_b32 v28, v7, v6 offset0:147 offset1:196
	;; [unrolled: 1-line block ×5, first 2 shown]
.LBB0_3:
	s_or_b32 exec_lo, exec_lo, s1
	s_clause 0x1
	s_load_dwordx2 s[2:3], s[4:5], 0x20
	s_load_dwordx2 s[0:1], s[4:5], 0x8
	s_waitcnt lgkmcnt(0)
	s_barrier
	buffer_gl0_inv
                                        ; implicit-def: $vgpr0
                                        ; implicit-def: $vgpr2
                                        ; implicit-def: $vgpr20
                                        ; implicit-def: $vgpr19
                                        ; implicit-def: $vgpr4
                                        ; implicit-def: $vgpr18
                                        ; implicit-def: $vgpr17
                                        ; implicit-def: $vgpr15
                                        ; implicit-def: $vgpr16
                                        ; implicit-def: $vgpr7
                                        ; implicit-def: $vgpr21
                                        ; implicit-def: $vgpr22
                                        ; implicit-def: $vgpr14
                                        ; implicit-def: $vgpr26
                                        ; implicit-def: $vgpr33
                                        ; implicit-def: $vgpr34
	s_and_saveexec_b32 s4, vcc_lo
	s_cbranch_execz .LBB0_5
; %bb.4:
	v_lshl_add_u32 v9, v11, 2, v23
	v_add_nc_u32_e32 v4, 0x400, v9
	ds_read2_b32 v[0:1], v9 offset1:49
	ds_read2_b32 v[13:14], v9 offset0:98 offset1:147
	ds_read2_b32 v[6:7], v9 offset0:196 offset1:245
	ds_read2_b32 v[2:3], v4 offset0:38 offset1:87
	ds_read2_b32 v[4:5], v4 offset0:136 offset1:185
	ds_read_b32 v15, v9 offset:1960
	s_waitcnt lgkmcnt(4)
	v_lshrrev_b32_e32 v33, 16, v13
	v_lshrrev_b32_e32 v26, 16, v14
	;; [unrolled: 1-line block ×3, first 2 shown]
	s_waitcnt lgkmcnt(3)
	v_lshrrev_b32_e32 v22, 16, v6
	v_lshrrev_b32_e32 v21, 16, v7
	s_waitcnt lgkmcnt(2)
	v_lshrrev_b32_e32 v20, 16, v2
	v_lshrrev_b32_e32 v19, 16, v3
	s_waitcnt lgkmcnt(1)
	v_lshrrev_b32_e32 v18, 16, v4
	v_lshrrev_b32_e32 v17, 16, v5
	s_waitcnt lgkmcnt(0)
	v_lshrrev_b32_e32 v16, 16, v15
.LBB0_5:
	s_or_b32 exec_lo, exec_lo, s4
	v_sub_f16_e32 v64, v34, v16
	v_sub_f16_e32 v65, v1, v15
	v_add_f16_e32 v35, v15, v1
	v_add_f16_e32 v36, v16, v34
	v_sub_f16_e32 v69, v33, v17
	v_mul_f16_e32 v40, 0xb853, v64
	v_mul_f16_e32 v42, 0xb853, v65
	;; [unrolled: 1-line block ×5, first 2 shown]
	v_fmamk_f16 v9, v35, 0x3abb, v40
	v_fma_f16 v10, v36, 0x3abb, -v42
	v_fmamk_f16 v12, v35, 0x36a6, v44
	v_fma_f16 v27, v36, 0x36a6, -v45
	v_fmamk_f16 v28, v35, 0xb08e, v47
	v_add_f16_e32 v37, v5, v13
	v_mul_f16_e32 v46, 0xba0c, v69
	v_mul_f16_e32 v51, 0x3482, v69
	v_sub_f16_e32 v70, v26, v18
	v_add_f16_e32 v29, v9, v0
	v_add_f16_sdwa v30, v10, v0 dst_sel:DWORD dst_unused:UNUSED_PAD src0_sel:DWORD src1_sel:WORD_1
	v_add_f16_e32 v9, v12, v0
	v_add_f16_sdwa v12, v27, v0 dst_sel:DWORD dst_unused:UNUSED_PAD src0_sel:DWORD src1_sel:WORD_1
	v_add_f16_e32 v10, v28, v0
	v_fmamk_f16 v27, v37, 0xb93d, v46
	v_fmamk_f16 v28, v37, 0xbbad, v51
	v_add_f16_e32 v39, v4, v14
	v_mul_f16_e32 v48, 0x3482, v70
	v_mul_f16_e32 v53, 0x3b47, v70
	v_sub_f16_e32 v71, v22, v19
	v_add_f16_e32 v9, v27, v9
	v_add_f16_e32 v10, v28, v10
	v_fmamk_f16 v27, v39, 0xbbad, v48
	v_fmamk_f16 v28, v39, 0x36a6, v53
	v_add_f16_e32 v41, v3, v6
	v_mul_f16_e32 v50, 0x3beb, v71
	v_mul_f16_e32 v57, 0xb853, v71
	v_sub_f16_e32 v76, v21, v20
	v_add_f16_e32 v9, v27, v9
	v_add_f16_e32 v10, v28, v10
	v_fmamk_f16 v27, v41, 0xb08e, v50
	v_fmamk_f16 v28, v41, 0x3abb, v57
	v_add_f16_e32 v43, v2, v7
	v_mul_f16_e32 v55, 0x3853, v76
	v_mul_f16_e32 v58, 0xba0c, v76
	;; [unrolled: 1-line block ×3, first 2 shown]
	v_sub_f16_e32 v73, v13, v5
	v_add_f16_e32 v9, v27, v9
	v_add_f16_e32 v27, v28, v10
	v_fmamk_f16 v10, v43, 0x3abb, v55
	v_fmamk_f16 v28, v43, 0xb93d, v58
	;; [unrolled: 1-line block ×3, first 2 shown]
	v_mul_f16_e32 v80, 0xba0c, v64
	v_add_f16_e32 v38, v17, v33
	v_mul_f16_e32 v59, 0xbb47, v73
	v_add_f16_e32 v10, v10, v9
	;; [unrolled: 2-line block ×3, first 2 shown]
	v_add_f16_e32 v28, v31, v29
	v_fmamk_f16 v31, v35, 0xb93d, v80
	v_mul_f16_e32 v79, 0x3beb, v69
	v_mul_f16_e32 v66, 0xba0c, v73
	v_fma_f16 v27, v38, 0x36a6, -v59
	v_fma_f16 v29, v36, 0xb08e, -v74
	v_mul_f16_e32 v77, 0x3482, v73
	v_add_f16_e32 v31, v31, v0
	v_fmamk_f16 v54, v37, 0xb08e, v79
	v_mul_f16_e32 v86, 0xba0c, v65
	v_fma_f16 v32, v38, 0xb93d, -v66
	v_add_f16_sdwa v29, v29, v0 dst_sel:DWORD dst_unused:UNUSED_PAD src0_sel:DWORD src1_sel:WORD_1
	v_fma_f16 v52, v38, 0xbbad, -v77
	v_add_f16_e32 v27, v27, v30
	v_add_f16_e32 v30, v54, v31
	v_sub_f16_e32 v88, v14, v4
	v_fma_f16 v31, v36, 0xb93d, -v86
	v_mul_f16_e32 v89, 0x3beb, v73
	v_add_f16_e32 v12, v32, v12
	v_add_f16_e32 v29, v52, v29
	v_mul_f16_e32 v54, 0xbbeb, v70
	v_add_f16_e32 v52, v18, v26
	v_mul_f16_e32 v67, 0xbbeb, v88
	v_mul_f16_e32 v72, 0x3482, v88
	v_add_f16_sdwa v31, v31, v0 dst_sel:DWORD dst_unused:UNUSED_PAD src0_sel:DWORD src1_sel:WORD_1
	v_fma_f16 v32, v38, 0xb08e, -v89
	v_mul_f16_e32 v81, 0x3b47, v88
	v_fmamk_f16 v56, v39, 0xb08e, v54
	v_fma_f16 v60, v52, 0xb08e, -v67
	v_fma_f16 v61, v52, 0xbbad, -v72
	v_add_f16_e32 v31, v32, v31
	v_fma_f16 v32, v52, 0x36a6, -v81
	v_sub_f16_e32 v92, v6, v3
	v_mul_f16_e32 v82, 0xb853, v70
	v_mul_f16_e32 v90, 0xb853, v88
	v_add_f16_e32 v28, v56, v28
	v_add_f16_e32 v27, v60, v27
	;; [unrolled: 1-line block ×3, first 2 shown]
	v_mul_f16_e32 v60, 0xba0c, v71
	v_add_f16_e32 v56, v19, v22
	v_mul_f16_e32 v63, 0xba0c, v92
	v_fmamk_f16 v61, v39, 0x3abb, v82
	v_add_f16_e32 v29, v32, v29
	v_fma_f16 v32, v52, 0x3abb, -v90
	v_mul_f16_e32 v75, 0x3beb, v92
	v_fmamk_f16 v62, v41, 0xb93d, v60
	v_fma_f16 v68, v56, 0xb93d, -v63
	v_add_f16_e32 v30, v61, v30
	v_add_f16_e32 v31, v32, v31
	v_mul_f16_e32 v83, 0xb853, v92
	v_fma_f16 v32, v56, 0xb08e, -v75
	v_mul_f16_e32 v84, 0xb482, v71
	v_mul_f16_e32 v91, 0xb482, v92
	;; [unrolled: 1-line block ×3, first 2 shown]
	v_add_f16_e32 v28, v62, v28
	v_add_f16_e32 v27, v68, v27
	v_fma_f16 v62, v56, 0x3abb, -v83
	v_add_f16_e32 v12, v32, v12
	v_fmamk_f16 v32, v41, 0xbbad, v84
	v_fma_f16 v68, v56, 0xbbad, -v91
	v_fmamk_f16 v78, v43, 0xbbad, v61
	v_sub_f16_e32 v94, v7, v2
	v_add_f16_e32 v95, v62, v29
	v_add_f16_e32 v96, v32, v30
	;; [unrolled: 1-line block ×5, first 2 shown]
	v_mul_f16_e32 v68, 0xb482, v94
	v_mul_f16_e32 v78, 0x3853, v94
	;; [unrolled: 1-line block ×5, first 2 shown]
	v_fma_f16 v29, v62, 0xbbad, -v68
	v_fma_f16 v30, v62, 0x3abb, -v78
	;; [unrolled: 1-line block ×4, first 2 shown]
	v_fmamk_f16 v98, v43, 0x36a6, v87
	v_add_f16_e32 v29, v29, v27
	v_add_f16_e32 v30, v30, v12
	v_add_f16_e32 v31, v31, v95
	v_add_f16_e32 v32, v97, v32
	v_add_f16_e32 v12, v98, v96
	v_mul_lo_u16 v27, v24, 11
	s_barrier
	buffer_gl0_inv
	s_and_saveexec_b32 s4, vcc_lo
	s_cbranch_execz .LBB0_7
; %bb.6:
	v_mul_f16_e32 v65, 0xb482, v65
	v_mul_f16_e32 v64, 0xb482, v64
	;; [unrolled: 1-line block ×5, first 2 shown]
	v_fmamk_f16 v96, v36, 0xbbad, v65
	v_fma_f16 v97, v35, 0xbbad, -v64
	v_mul_f16_e32 v98, 0xb08e, v38
	v_fmamk_f16 v99, v38, 0x3abb, v73
	v_fma_f16 v100, v37, 0x3abb, -v69
	v_add_f16_sdwa v96, v96, v0 dst_sel:DWORD dst_unused:UNUSED_PAD src0_sel:DWORD src1_sel:WORD_1
	v_add_f16_e32 v97, v97, v0
	v_add_f16_e32 v86, v86, v95
	v_mul_f16_e32 v88, 0xba0c, v88
	v_add_f16_e32 v89, v89, v98
	v_add_f16_e32 v95, v99, v96
	;; [unrolled: 1-line block ×3, first 2 shown]
	v_add_f16_sdwa v86, v86, v0 dst_sel:DWORD dst_unused:UNUSED_PAD src0_sel:DWORD src1_sel:WORD_1
	v_fmamk_f16 v97, v52, 0xb93d, v88
	v_mul_f16_e32 v92, 0x3b47, v92
	v_mul_f16_e32 v70, 0xba0c, v70
	;; [unrolled: 1-line block ×3, first 2 shown]
	v_add_f16_e32 v86, v89, v86
	v_add_f16_e32 v89, v97, v95
	v_fmamk_f16 v95, v56, 0x36a6, v92
	v_fma_f16 v97, v39, 0xb93d, -v70
	v_mul_f16_e32 v71, 0x3b47, v71
	v_add_f16_e32 v90, v90, v98
	v_add_f16_sdwa v34, v34, v0 dst_sel:DWORD dst_unused:UNUSED_PAD src0_sel:DWORD src1_sel:WORD_1
	v_add_f16_e32 v89, v95, v89
	v_add_f16_e32 v95, v97, v96
	v_mul_f16_e32 v96, 0xbbad, v56
	v_fma_f16 v97, v41, 0x36a6, -v71
	v_add_f16_e32 v86, v90, v86
	v_add_f16_e32 v1, v1, v0
	;; [unrolled: 1-line block ×5, first 2 shown]
	v_mul_f16_e32 v95, 0x36a6, v62
	v_mul_f16_e32 v97, 0xb93d, v35
	v_add_f16_e32 v1, v13, v1
	v_add_f16_e32 v86, v90, v86
	;; [unrolled: 1-line block ×4, first 2 shown]
	v_mul_f16_e32 v93, 0xb08e, v36
	v_sub_f16_e32 v80, v97, v80
	v_mul_f16_e32 v95, 0xb08e, v37
	v_add_f16_e32 v1, v14, v1
	v_add_f16_e32 v86, v90, v86
	v_mul_f16_e32 v90, 0xbbad, v38
	v_add_f16_e32 v74, v74, v93
	v_add_f16_e32 v80, v80, v0
	v_sub_f16_e32 v79, v95, v79
	v_mul_f16_e32 v93, 0x3abb, v39
	v_add_f16_e32 v77, v77, v90
	v_add_f16_sdwa v74, v74, v0 dst_sel:DWORD dst_unused:UNUSED_PAD src0_sel:DWORD src1_sel:WORD_1
	v_mul_f16_e32 v90, 0x3abb, v35
	v_add_f16_e32 v79, v79, v80
	v_mul_f16_e32 v80, 0x36a6, v52
	v_sub_f16_e32 v82, v93, v82
	v_add_f16_e32 v74, v77, v74
	v_mul_f16_e32 v77, 0xbbad, v41
	v_sub_f16_e32 v40, v90, v40
	v_add_f16_e32 v80, v81, v80
	v_add_f16_e32 v79, v82, v79
	v_mul_f16_e32 v82, 0x3abb, v56
	v_sub_f16_e32 v77, v77, v84
	v_add_f16_e32 v40, v40, v0
	v_add_f16_e32 v74, v80, v74
	v_mul_f16_e32 v80, 0x36a6, v43
	v_add_f16_e32 v82, v83, v82
	v_mul_f16_e32 v83, 0xb08e, v35
	;; [unrolled: 2-line block ×3, first 2 shown]
	v_sub_f16_e32 v80, v80, v87
	v_mul_f16_e32 v87, 0xb93d, v62
	v_add_f16_e32 v74, v82, v74
	v_mul_f16_e32 v82, 0xbbad, v37
	v_sub_f16_e32 v47, v83, v47
	v_add_f16_e32 v77, v80, v77
	v_add_f16_e32 v85, v85, v87
	v_mul_f16_e32 v80, 0xb08e, v39
	v_sub_f16_e32 v51, v82, v51
	v_add_f16_e32 v47, v47, v0
	v_sub_f16_e32 v49, v79, v49
	v_add_f16_e32 v74, v85, v74
	v_mul_f16_e32 v85, 0x36a6, v39
	v_mul_f16_e32 v81, 0x36a6, v35
	v_add_f16_e32 v47, v51, v47
	v_add_f16_e32 v40, v49, v40
	v_sub_f16_e32 v14, v80, v54
	v_sub_f16_e32 v53, v85, v53
	v_add_f16_e32 v22, v22, v26
	v_add_f16_e32 v1, v6, v1
	v_mul_f16_e32 v93, 0x3abb, v36
	v_mul_f16_e32 v84, 0x36a6, v36
	v_add_f16_e32 v47, v53, v47
	v_mul_f16_e32 v53, 0xb93d, v41
	v_mul_f16_e32 v87, 0xb93d, v37
	v_sub_f16_e32 v44, v81, v44
	v_fma_f16 v36, v36, 0xbbad, -v65
	v_add_f16_e32 v6, v14, v40
	v_sub_f16_e32 v14, v53, v60
	v_add_f16_e32 v21, v21, v22
	v_add_f16_e32 v1, v7, v1
	v_mul_f16_e32 v83, 0x36a6, v38
	v_mul_f16_e32 v82, 0xb93d, v38
	v_add_f16_e32 v45, v45, v84
	v_mul_f16_e32 v84, 0xbbad, v39
	v_sub_f16_e32 v46, v87, v46
	v_add_f16_e32 v44, v44, v0
	v_add_f16_e32 v42, v42, v93
	v_add_f16_sdwa v26, v36, v0 dst_sel:DWORD dst_unused:UNUSED_PAD src0_sel:DWORD src1_sel:WORD_1
	v_fma_f16 v7, v38, 0x3abb, -v73
	v_add_f16_e32 v6, v14, v6
	v_add_f16_e32 v14, v20, v21
	;; [unrolled: 1-line block ×3, first 2 shown]
	v_fmac_f16_e32 v64, 0xbbad, v35
	v_mul_f16_e32 v51, 0xb08e, v52
	v_mul_f16_e32 v85, 0x3abb, v41
	v_add_f16_e32 v66, v66, v82
	v_mul_f16_e32 v82, 0xbbad, v52
	v_add_f16_sdwa v45, v45, v0 dst_sel:DWORD dst_unused:UNUSED_PAD src0_sel:DWORD src1_sel:WORD_1
	v_add_f16_e32 v44, v46, v44
	v_sub_f16_e32 v46, v84, v48
	v_add_f16_sdwa v42, v42, v0 dst_sel:DWORD dst_unused:UNUSED_PAD src0_sel:DWORD src1_sel:WORD_1
	v_add_f16_e32 v48, v59, v83
	v_add_f16_e32 v2, v7, v26
	v_fma_f16 v7, v52, 0xb93d, -v88
	v_add_f16_e32 v14, v19, v14
	v_add_f16_e32 v1, v3, v1
	;; [unrolled: 1-line block ×3, first 2 shown]
	v_fmac_f16_e32 v69, 0x3abb, v37
	v_sub_f16_e32 v57, v85, v57
	v_mul_f16_e32 v85, 0xb93d, v56
	v_add_f16_e32 v45, v66, v45
	v_mul_f16_e32 v66, 0xb08e, v41
	v_add_f16_e32 v72, v72, v82
	;; [unrolled: 2-line block ×3, first 2 shown]
	v_add_f16_e32 v48, v67, v51
	v_add_f16_e32 v2, v7, v2
	v_add_f16_e32 v7, v18, v14
	v_add_f16_e32 v1, v4, v1
	v_add_f16_e32 v0, v69, v0
	v_fmac_f16_e32 v70, 0xb93d, v39
	v_add_f16_e32 v47, v57, v47
	v_mul_f16_e32 v57, 0xbbad, v43
	v_mul_f16_e32 v81, 0xbbad, v62
	v_add_f16_e32 v45, v72, v45
	v_mul_f16_e32 v72, 0x3abb, v43
	v_add_f16_e32 v75, v75, v82
	;; [unrolled: 2-line block ×3, first 2 shown]
	v_sub_f16_e32 v46, v66, v50
	v_add_f16_e32 v42, v48, v42
	v_add_f16_e32 v48, v63, v85
	v_fma_f16 v3, v56, 0x36a6, -v92
	v_add_f16_e32 v7, v17, v7
	v_add_f16_e32 v1, v5, v1
	v_mul_f16_e32 v87, 0xb93d, v43
	v_mul_f16_e32 v94, 0xbbeb, v94
	v_mul_f16_e32 v76, 0xbbeb, v76
	v_add_f16_e32 v0, v70, v0
	v_fmac_f16_e32 v71, 0x36a6, v41
	v_add_f16_e32 v45, v75, v45
	v_add_f16_e32 v59, v78, v82
	;; [unrolled: 1-line block ×3, first 2 shown]
	v_sub_f16_e32 v46, v72, v55
	v_add_f16_e32 v34, v48, v42
	v_add_f16_e32 v33, v68, v81
	v_sub_f16_e32 v4, v57, v61
	v_add_f16_e32 v2, v3, v2
	v_add_f16_sdwa v3, v16, v7 dst_sel:WORD_1 dst_unused:UNUSED_PAD src0_sel:DWORD src1_sel:DWORD
	v_add_f16_e32 v1, v15, v1
	v_and_b32_e32 v5, 0xffff, v27
	v_sub_f16_e32 v58, v87, v58
	v_fmamk_f16 v98, v62, 0xb08e, v94
	v_fma_f16 v96, v43, 0xb08e, -v76
	v_fma_f16 v7, v62, 0xb08e, -v94
	v_add_f16_e32 v0, v71, v0
	v_fmac_f16_e32 v76, 0xb08e, v43
	v_add_f16_e32 v45, v59, v45
	v_add_f16_e32 v13, v46, v44
	v_or_b32_sdwa v1, v3, v1 dst_sel:DWORD dst_unused:UNUSED_PAD src0_sel:DWORD src1_sel:WORD_0
	v_add_lshl_u32 v3, v11, v5, 2
	v_add_f16_e32 v5, v33, v34
	v_add_f16_e32 v4, v4, v6
	;; [unrolled: 1-line block ×7, first 2 shown]
	ds_write_b32 v3, v1
	v_pack_b32_f16 v1, v13, v45
	v_pack_b32_f16 v4, v4, v5
	;; [unrolled: 1-line block ×6, first 2 shown]
	v_perm_b32 v7, v31, v9, 0x5040100
	v_perm_b32 v13, v32, v12, 0x5040100
	;; [unrolled: 1-line block ×4, first 2 shown]
	ds_write2_b32 v3, v4, v1 offset0:1 offset1:2
	ds_write2_b32 v3, v6, v5 offset0:3 offset1:4
	;; [unrolled: 1-line block ×5, first 2 shown]
.LBB0_7:
	s_or_b32 exec_lo, exec_lo, s4
	v_and_b32_e32 v0, 0xff, v24
	s_load_dwordx4 s[4:7], s[2:3], 0x0
	s_waitcnt lgkmcnt(0)
	s_barrier
	buffer_gl0_inv
	v_mul_lo_u16 v0, 0x75, v0
	v_add_lshl_u32 v33, v11, v24, 2
	v_mov_b32_e32 v18, 0x4d
	v_lshrrev_b16 v0, 8, v0
	v_add_nc_u32_e32 v21, 0x400, v33
	v_sub_nc_u16 v1, v24, v0
	v_lshrrev_b16 v1, 1, v1
	v_and_b32_e32 v1, 0x7f, v1
	v_add_nc_u16 v0, v1, v0
	v_mov_b32_e32 v1, 6
	v_lshrrev_b16 v17, 3, v0
	v_mul_lo_u16 v0, v17, 11
	v_mul_u32_u24_sdwa v22, v17, v18 dst_sel:DWORD dst_unused:UNUSED_PAD src0_sel:WORD_0 src1_sel:DWORD
	v_mad_u64_u32 v[17:18], null, v24, 24, s[0:1]
	v_sub_nc_u16 v19, v24, v0
	v_mul_u32_u24_sdwa v0, v19, v1 dst_sel:DWORD dst_unused:UNUSED_PAD src0_sel:BYTE_0 src1_sel:DWORD
	v_add_nc_u32_sdwa v19, v22, v19 dst_sel:DWORD dst_unused:UNUSED_PAD src0_sel:DWORD src1_sel:BYTE_0
	v_lshlrev_b32_e32 v4, 2, v0
	v_add_lshl_u32 v34, v11, v19, 2
	s_clause 0x1
	global_load_dwordx4 v[0:3], v4, s[0:1]
	global_load_dwordx2 v[13:14], v4, s[0:1] offset:16
	ds_read2_b32 v[4:5], v33 offset1:77
	ds_read2_b32 v[6:7], v33 offset0:154 offset1:231
	ds_read_b32 v20, v33 offset:1848
	ds_read2_b32 v[15:16], v21 offset0:52 offset1:129
	s_waitcnt vmcnt(0) lgkmcnt(0)
	s_barrier
	buffer_gl0_inv
	v_lshrrev_b32_e32 v35, 16, v6
	v_lshrrev_b32_e32 v26, 16, v5
	;; [unrolled: 1-line block ×6, first 2 shown]
	v_mul_f16_sdwa v11, v26, v0 dst_sel:DWORD dst_unused:UNUSED_PAD src0_sel:DWORD src1_sel:WORD_1
	v_mul_f16_sdwa v19, v5, v0 dst_sel:DWORD dst_unused:UNUSED_PAD src0_sel:DWORD src1_sel:WORD_1
	;; [unrolled: 1-line block ×12, first 2 shown]
	v_fma_f16 v5, v5, v0, -v11
	v_fmac_f16_e32 v19, v26, v0
	v_fma_f16 v6, v6, v1, -v39
	v_fmac_f16_e32 v40, v35, v1
	v_fma_f16 v11, v15, v3, -v43
	v_fma_f16 v15, v20, v14, -v47
	v_fmac_f16_e32 v48, v36, v14
	v_fma_f16 v16, v16, v13, -v45
	v_fmac_f16_e32 v46, v38, v13
	;; [unrolled: 2-line block ×3, first 2 shown]
	v_fmac_f16_e32 v44, v37, v3
	v_add_f16_e32 v20, v5, v15
	v_add_f16_e32 v22, v19, v48
	v_sub_f16_e32 v5, v5, v15
	v_sub_f16_e32 v15, v19, v48
	v_add_f16_e32 v19, v6, v16
	v_add_f16_e32 v26, v40, v46
	v_sub_f16_e32 v6, v6, v16
	v_add_f16_e32 v35, v7, v11
	v_add_f16_e32 v36, v42, v44
	;; [unrolled: 3-line block ×3, first 2 shown]
	v_sub_f16_e32 v16, v40, v46
	v_sub_f16_e32 v11, v44, v42
	;; [unrolled: 1-line block ×8, first 2 shown]
	v_add_f16_e32 v41, v7, v6
	v_sub_f16_e32 v43, v7, v6
	v_sub_f16_e32 v6, v6, v5
	v_add_f16_e32 v35, v35, v37
	v_add_f16_e32 v36, v36, v38
	;; [unrolled: 1-line block ×3, first 2 shown]
	v_sub_f16_e32 v44, v11, v16
	v_sub_f16_e32 v7, v5, v7
	;; [unrolled: 1-line block ×3, first 2 shown]
	v_add_f16_e32 v5, v41, v5
	v_mul_f16_e32 v20, 0x3a52, v20
	v_mul_f16_e32 v37, 0x2b26, v19
	;; [unrolled: 1-line block ×4, first 2 shown]
	v_add_f16_e32 v45, v35, v4
	v_add_f16_sdwa v4, v36, v4 dst_sel:DWORD dst_unused:UNUSED_PAD src0_sel:DWORD src1_sel:WORD_1
	v_sub_f16_e32 v11, v15, v11
	v_add_f16_e32 v15, v42, v15
	v_mul_f16_e32 v22, 0x3a52, v22
	v_mul_f16_e32 v38, 0x2b26, v26
	;; [unrolled: 1-line block ×4, first 2 shown]
	v_fmamk_f16 v19, v19, 0x2b26, v20
	v_fma_f16 v37, v39, 0x39e0, -v37
	v_fma_f16 v20, v39, 0xb9e0, -v20
	v_fmamk_f16 v39, v7, 0x3574, v41
	v_fma_f16 v6, v6, 0x3b00, -v41
	v_fma_f16 v7, v7, 0xb574, -v43
	v_lshlrev_b32_e32 v41, 16, v4
	v_fmamk_f16 v26, v26, 0x2b26, v22
	v_fma_f16 v38, v40, 0x39e0, -v38
	v_fma_f16 v22, v40, 0xb9e0, -v22
	v_fmamk_f16 v40, v11, 0x3574, v42
	v_fma_f16 v16, v16, 0x3b00, -v42
	v_fma_f16 v11, v11, 0xb574, -v44
	v_fmac_f16_e32 v4, 0xbcab, v36
	v_fmac_f16_e32 v39, 0x370e, v5
	;; [unrolled: 1-line block ×4, first 2 shown]
	v_or_b32_sdwa v5, v41, v45 dst_sel:DWORD dst_unused:UNUSED_PAD src0_sel:DWORD src1_sel:WORD_0
	v_fmac_f16_e32 v45, 0xbcab, v35
	v_fmac_f16_e32 v40, 0x370e, v15
	;; [unrolled: 1-line block ×4, first 2 shown]
	v_add_f16_e32 v15, v26, v4
	v_add_f16_e32 v26, v38, v4
	v_add_f16_e32 v4, v22, v4
	v_add_f16_e32 v19, v19, v45
	v_add_f16_e32 v22, v37, v45
	v_add_f16_e32 v20, v20, v45
	v_sub_f16_e32 v35, v15, v39
	v_sub_f16_e32 v36, v4, v7
	v_add_f16_e32 v4, v7, v4
	v_add_f16_e32 v7, v39, v15
	;; [unrolled: 1-line block ×4, first 2 shown]
	v_sub_f16_e32 v6, v26, v6
	v_add_f16_e32 v26, v11, v20
	v_sub_f16_e32 v38, v22, v16
	v_add_f16_e32 v16, v16, v22
	v_sub_f16_e32 v11, v20, v11
	v_sub_f16_e32 v19, v19, v40
	v_pack_b32_f16 v15, v15, v35
	v_pack_b32_f16 v20, v26, v36
	;; [unrolled: 1-line block ×6, first 2 shown]
	ds_write2_b32 v34, v5, v15 offset1:11
	ds_write2_b32 v34, v20, v22 offset0:22 offset1:33
	ds_write2_b32 v34, v6, v4 offset0:44 offset1:55
	ds_write_b32 v34, v7 offset:264
	s_waitcnt lgkmcnt(0)
	s_barrier
	buffer_gl0_inv
	s_clause 0x1
	global_load_dwordx4 v[4:7], v[17:18], off offset:264
	global_load_dwordx2 v[15:16], v[17:18], off offset:280
	ds_read2_b32 v[17:18], v33 offset1:77
	ds_read2_b32 v[19:20], v33 offset0:154 offset1:231
	ds_read2_b32 v[21:22], v21 offset0:52 offset1:129
	ds_read_b32 v11, v33 offset:1848
	v_lshl_add_u32 v26, v24, 2, v25
	v_add_nc_u32_e32 v41, 0x400, v26
	s_waitcnt lgkmcnt(3)
	v_lshrrev_b32_e32 v35, 16, v18
	s_waitcnt lgkmcnt(2)
	v_lshrrev_b32_e32 v36, 16, v19
	;; [unrolled: 2-line block ×4, first 2 shown]
	v_lshrrev_b32_e32 v37, 16, v20
	v_lshrrev_b32_e32 v38, 16, v21
	s_waitcnt vmcnt(1)
	v_mul_f16_sdwa v43, v18, v4 dst_sel:DWORD dst_unused:UNUSED_PAD src0_sel:DWORD src1_sel:WORD_1
	v_mul_f16_sdwa v45, v19, v5 dst_sel:DWORD dst_unused:UNUSED_PAD src0_sel:DWORD src1_sel:WORD_1
	s_waitcnt vmcnt(0)
	v_mul_f16_sdwa v51, v22, v15 dst_sel:DWORD dst_unused:UNUSED_PAD src0_sel:DWORD src1_sel:WORD_1
	v_mul_f16_sdwa v53, v11, v16 dst_sel:DWORD dst_unused:UNUSED_PAD src0_sel:DWORD src1_sel:WORD_1
	;; [unrolled: 1-line block ×8, first 2 shown]
	v_fmac_f16_e32 v43, v35, v4
	v_fmac_f16_e32 v45, v36, v5
	;; [unrolled: 1-line block ×4, first 2 shown]
	v_mul_f16_sdwa v46, v37, v6 dst_sel:DWORD dst_unused:UNUSED_PAD src0_sel:DWORD src1_sel:WORD_1
	v_mul_f16_sdwa v48, v38, v7 dst_sel:DWORD dst_unused:UNUSED_PAD src0_sel:DWORD src1_sel:WORD_1
	v_fma_f16 v18, v18, v4, -v42
	v_fma_f16 v19, v19, v5, -v44
	v_fmac_f16_e32 v47, v37, v6
	v_fma_f16 v11, v11, v16, -v52
	v_fmac_f16_e32 v49, v38, v7
	v_fma_f16 v22, v22, v15, -v50
	v_add_f16_e32 v36, v43, v53
	v_add_f16_e32 v38, v45, v51
	v_fma_f16 v20, v20, v6, -v46
	v_fma_f16 v21, v21, v7, -v48
	v_add_f16_e32 v35, v18, v11
	v_sub_f16_e32 v11, v18, v11
	v_sub_f16_e32 v18, v43, v53
	v_add_f16_e32 v37, v19, v22
	v_add_f16_e32 v40, v47, v49
	;; [unrolled: 1-line block ×3, first 2 shown]
	v_sub_f16_e32 v19, v19, v22
	v_sub_f16_e32 v22, v45, v51
	v_add_f16_e32 v39, v20, v21
	v_sub_f16_e32 v20, v21, v20
	v_sub_f16_e32 v21, v49, v47
	v_add_f16_e32 v42, v37, v35
	v_sub_f16_e32 v45, v38, v36
	v_sub_f16_e32 v36, v36, v40
	;; [unrolled: 1-line block ×3, first 2 shown]
	v_add_f16_e32 v40, v40, v43
	v_sub_f16_e32 v44, v37, v35
	v_sub_f16_e32 v35, v35, v39
	;; [unrolled: 1-line block ×3, first 2 shown]
	v_add_f16_e32 v46, v20, v19
	v_add_f16_e32 v47, v21, v22
	v_sub_f16_e32 v48, v20, v19
	v_sub_f16_e32 v49, v21, v22
	;; [unrolled: 1-line block ×4, first 2 shown]
	v_add_f16_e32 v39, v39, v42
	v_add_f16_sdwa v51, v40, v17 dst_sel:DWORD dst_unused:UNUSED_PAD src0_sel:DWORD src1_sel:WORD_1
	v_sub_f16_e32 v20, v11, v20
	v_sub_f16_e32 v21, v18, v21
	v_add_f16_e32 v11, v46, v11
	v_add_f16_e32 v18, v47, v18
	v_mul_f16_e32 v35, 0x3a52, v35
	v_mul_f16_e32 v36, 0x3a52, v36
	v_mul_f16_e32 v42, 0x2b26, v37
	v_mul_f16_e32 v43, 0x2b26, v38
	v_mul_f16_e32 v46, 0xb846, v48
	v_mul_f16_e32 v47, 0xb846, v49
	v_mul_f16_e32 v48, 0x3b00, v19
	v_mul_f16_e32 v49, 0x3b00, v22
	v_add_f16_e32 v50, v39, v17
	v_lshlrev_b32_e32 v17, 16, v51
	v_fmamk_f16 v37, v37, 0x2b26, v35
	v_fmamk_f16 v38, v38, 0x2b26, v36
	v_fma_f16 v42, v44, 0x39e0, -v42
	v_fma_f16 v43, v45, 0x39e0, -v43
	v_fma_f16 v35, v44, 0xb9e0, -v35
	v_fma_f16 v36, v45, 0xb9e0, -v36
	v_fmamk_f16 v44, v20, 0x3574, v46
	v_fmamk_f16 v45, v21, 0x3574, v47
	v_fma_f16 v19, v19, 0x3b00, -v46
	v_fma_f16 v46, v22, 0x3b00, -v47
	;; [unrolled: 1-line block ×4, first 2 shown]
	v_fmac_f16_e32 v51, 0xbcab, v40
	v_or_b32_sdwa v17, v17, v50 dst_sel:DWORD dst_unused:UNUSED_PAD src0_sel:DWORD src1_sel:WORD_0
	v_fmac_f16_e32 v50, 0xbcab, v39
	v_fmac_f16_e32 v44, 0x370e, v11
	;; [unrolled: 1-line block ×7, first 2 shown]
	v_add_f16_e32 v11, v38, v51
	v_add_f16_e32 v18, v43, v51
	;; [unrolled: 1-line block ×6, first 2 shown]
	v_sub_f16_e32 v40, v11, v44
	v_add_f16_e32 v38, v19, v18
	v_sub_f16_e32 v37, v18, v19
	v_add_f16_e32 v18, v45, v43
	;; [unrolled: 2-line block ×3, first 2 shown]
	v_add_f16_e32 v21, v47, v48
	v_sub_f16_e32 v22, v42, v46
	v_add_f16_e32 v19, v46, v42
	v_sub_f16_e32 v20, v48, v47
	;; [unrolled: 2-line block ×3, first 2 shown]
	v_pack_b32_f16 v42, v18, v40
	v_pack_b32_f16 v43, v21, v39
	;; [unrolled: 1-line block ×6, first 2 shown]
	ds_write2_b32 v26, v17, v42 offset1:77
	ds_write2_b32 v26, v43, v44 offset0:154 offset1:231
	ds_write2_b32 v41, v45, v46 offset0:52 offset1:129
	ds_write_b32 v26, v47 offset:1848
	s_waitcnt lgkmcnt(0)
	s_barrier
	buffer_gl0_inv
	s_and_saveexec_b32 s1, vcc_lo
	s_cbranch_execz .LBB0_9
; %bb.8:
	v_add_co_u32 v44, s0, s20, v23
	v_add_co_ci_u32_e64 v45, null, s21, 0, s0
	v_add_co_u32 v42, s0, 0x800, v44
	v_add_co_ci_u32_e64 v43, s0, 0, v45, s0
	v_add_co_u32 v44, s0, 0x86c, v44
	v_add_co_ci_u32_e64 v45, s0, 0, v45, s0
	s_clause 0xa
	global_load_dword v52, v[42:43], off offset:108
	global_load_dword v53, v[44:45], off offset:196
	;; [unrolled: 1-line block ×11, first 2 shown]
	ds_read2_b32 v[42:43], v26 offset1:49
	ds_read2_b32 v[44:45], v26 offset0:98 offset1:147
	ds_read2_b32 v[46:47], v26 offset0:196 offset1:245
	;; [unrolled: 1-line block ×4, first 2 shown]
	ds_read_b32 v63, v26 offset:1960
	s_waitcnt lgkmcnt(5)
	v_lshrrev_b32_e32 v64, 16, v42
	v_lshrrev_b32_e32 v65, 16, v43
	s_waitcnt lgkmcnt(4)
	v_lshrrev_b32_e32 v66, 16, v44
	v_lshrrev_b32_e32 v67, 16, v45
	;; [unrolled: 3-line block ×5, first 2 shown]
	s_waitcnt lgkmcnt(0)
	v_lshrrev_b32_e32 v74, 16, v63
	s_waitcnt vmcnt(10)
	v_mul_f16_sdwa v75, v64, v52 dst_sel:DWORD dst_unused:UNUSED_PAD src0_sel:DWORD src1_sel:WORD_1
	v_mul_f16_sdwa v76, v42, v52 dst_sel:DWORD dst_unused:UNUSED_PAD src0_sel:DWORD src1_sel:WORD_1
	s_waitcnt vmcnt(9)
	v_mul_f16_sdwa v77, v65, v53 dst_sel:DWORD dst_unused:UNUSED_PAD src0_sel:DWORD src1_sel:WORD_1
	v_mul_f16_sdwa v78, v43, v53 dst_sel:DWORD dst_unused:UNUSED_PAD src0_sel:DWORD src1_sel:WORD_1
	s_waitcnt vmcnt(8)
	v_mul_f16_sdwa v79, v66, v54 dst_sel:DWORD dst_unused:UNUSED_PAD src0_sel:DWORD src1_sel:WORD_1
	v_mul_f16_sdwa v80, v44, v54 dst_sel:DWORD dst_unused:UNUSED_PAD src0_sel:DWORD src1_sel:WORD_1
	s_waitcnt vmcnt(7)
	v_mul_f16_sdwa v81, v67, v55 dst_sel:DWORD dst_unused:UNUSED_PAD src0_sel:DWORD src1_sel:WORD_1
	v_mul_f16_sdwa v82, v45, v55 dst_sel:DWORD dst_unused:UNUSED_PAD src0_sel:DWORD src1_sel:WORD_1
	s_waitcnt vmcnt(6)
	v_mul_f16_sdwa v83, v68, v56 dst_sel:DWORD dst_unused:UNUSED_PAD src0_sel:DWORD src1_sel:WORD_1
	v_mul_f16_sdwa v84, v46, v56 dst_sel:DWORD dst_unused:UNUSED_PAD src0_sel:DWORD src1_sel:WORD_1
	s_waitcnt vmcnt(5)
	v_mul_f16_sdwa v85, v69, v57 dst_sel:DWORD dst_unused:UNUSED_PAD src0_sel:DWORD src1_sel:WORD_1
	v_mul_f16_sdwa v86, v47, v57 dst_sel:DWORD dst_unused:UNUSED_PAD src0_sel:DWORD src1_sel:WORD_1
	s_waitcnt vmcnt(4)
	v_mul_f16_sdwa v87, v70, v58 dst_sel:DWORD dst_unused:UNUSED_PAD src0_sel:DWORD src1_sel:WORD_1
	v_mul_f16_sdwa v88, v48, v58 dst_sel:DWORD dst_unused:UNUSED_PAD src0_sel:DWORD src1_sel:WORD_1
	s_waitcnt vmcnt(3)
	v_mul_f16_sdwa v89, v71, v59 dst_sel:DWORD dst_unused:UNUSED_PAD src0_sel:DWORD src1_sel:WORD_1
	v_mul_f16_sdwa v90, v49, v59 dst_sel:DWORD dst_unused:UNUSED_PAD src0_sel:DWORD src1_sel:WORD_1
	s_waitcnt vmcnt(2)
	v_mul_f16_sdwa v91, v72, v60 dst_sel:DWORD dst_unused:UNUSED_PAD src0_sel:DWORD src1_sel:WORD_1
	v_mul_f16_sdwa v92, v50, v60 dst_sel:DWORD dst_unused:UNUSED_PAD src0_sel:DWORD src1_sel:WORD_1
	s_waitcnt vmcnt(1)
	v_mul_f16_sdwa v93, v73, v61 dst_sel:DWORD dst_unused:UNUSED_PAD src0_sel:DWORD src1_sel:WORD_1
	v_mul_f16_sdwa v94, v51, v61 dst_sel:DWORD dst_unused:UNUSED_PAD src0_sel:DWORD src1_sel:WORD_1
	s_waitcnt vmcnt(0)
	v_mul_f16_sdwa v95, v74, v62 dst_sel:DWORD dst_unused:UNUSED_PAD src0_sel:DWORD src1_sel:WORD_1
	v_mul_f16_sdwa v96, v63, v62 dst_sel:DWORD dst_unused:UNUSED_PAD src0_sel:DWORD src1_sel:WORD_1
	v_fma_f16 v42, v42, v52, -v75
	v_fmac_f16_e32 v76, v64, v52
	v_fma_f16 v43, v43, v53, -v77
	v_fmac_f16_e32 v78, v65, v53
	;; [unrolled: 2-line block ×11, first 2 shown]
	v_pack_b32_f16 v42, v42, v76
	v_pack_b32_f16 v43, v43, v78
	;; [unrolled: 1-line block ×11, first 2 shown]
	ds_write2_b32 v26, v42, v43 offset1:49
	ds_write2_b32 v26, v44, v45 offset0:98 offset1:147
	ds_write2_b32 v26, v46, v47 offset0:196 offset1:245
	;; [unrolled: 1-line block ×4, first 2 shown]
	ds_write_b32 v26, v52 offset:1960
.LBB0_9:
	s_or_b32 exec_lo, exec_lo, s1
	s_waitcnt lgkmcnt(0)
	s_barrier
	buffer_gl0_inv
	s_and_saveexec_b32 s0, vcc_lo
	s_cbranch_execz .LBB0_11
; %bb.10:
	v_add_nc_u32_e32 v9, 0x400, v26
	ds_read2_b32 v[17:18], v26 offset1:49
	ds_read2_b32 v[21:22], v26 offset0:98 offset1:147
	ds_read2_b32 v[19:20], v26 offset0:196 offset1:245
	;; [unrolled: 1-line block ×4, first 2 shown]
	ds_read_b32 v28, v26 offset:1960
	s_waitcnt lgkmcnt(4)
	v_lshrrev_b32_e32 v39, 16, v21
	v_lshrrev_b32_e32 v38, 16, v22
	;; [unrolled: 1-line block ×3, first 2 shown]
	s_waitcnt lgkmcnt(3)
	v_lshrrev_b32_e32 v37, 16, v19
	v_lshrrev_b32_e32 v36, 16, v20
	s_waitcnt lgkmcnt(2)
	v_lshrrev_b32_e32 v35, 16, v11
	v_lshrrev_b32_e32 v32, 16, v12
	;; [unrolled: 3-line block ×3, first 2 shown]
	s_waitcnt lgkmcnt(0)
	v_lshrrev_b32_e32 v29, 16, v28
.LBB0_11:
	s_or_b32 exec_lo, exec_lo, s0
	s_barrier
	buffer_gl0_inv
	s_and_saveexec_b32 s0, vcc_lo
	s_cbranch_execz .LBB0_13
; %bb.12:
	v_add_f16_e32 v41, v29, v40
	v_sub_f16_e32 v42, v18, v28
	v_add_f16_e32 v43, v30, v39
	v_sub_f16_e32 v44, v21, v10
	v_add_f16_e32 v45, v31, v38
	v_mul_f16_e32 v46, 0xbbad, v41
	v_sub_f16_e32 v47, v22, v9
	v_mul_f16_e32 v50, 0x3abb, v43
	v_add_f16_e32 v48, v32, v37
	v_mul_f16_e32 v54, 0xb93d, v45
	v_fmamk_f16 v51, v42, 0x3482, v46
	v_sub_f16_e32 v56, v40, v29
	v_fmamk_f16 v55, v44, 0xb853, v50
	v_sub_f16_e32 v49, v19, v12
	v_add_f16_e32 v57, v28, v18
	v_add_f16_sdwa v51, v51, v17 dst_sel:DWORD dst_unused:UNUSED_PAD src0_sel:DWORD src1_sel:WORD_1
	v_mul_f16_e32 v58, 0x36a6, v48
	v_fmamk_f16 v59, v47, 0x3a0c, v54
	v_sub_f16_e32 v60, v39, v30
	v_add_f16_e32 v52, v35, v36
	v_add_f16_e32 v51, v55, v51
	v_mul_f16_e32 v55, 0xb482, v56
	v_add_f16_e32 v61, v10, v21
	v_fmamk_f16 v62, v49, 0xbb47, v58
	v_mul_f16_e32 v63, 0x3853, v60
	v_add_f16_e32 v51, v59, v51
	v_fmamk_f16 v59, v57, 0xbbad, v55
	v_sub_f16_e32 v64, v38, v31
	v_sub_f16_e32 v53, v20, v11
	v_mul_f16_e32 v65, 0xb08e, v52
	v_add_f16_e32 v51, v62, v51
	v_add_f16_e32 v59, v59, v17
	v_fmamk_f16 v62, v61, 0x3abb, v63
	v_add_f16_e32 v66, v9, v22
	v_mul_f16_e32 v67, 0xba0c, v64
	v_fmamk_f16 v68, v53, 0x3beb, v65
	v_add_f16_e32 v70, v12, v19
	v_add_f16_e32 v59, v62, v59
	v_sub_f16_e32 v62, v37, v32
	v_fmamk_f16 v69, v66, 0xb93d, v67
	v_add_f16_e32 v51, v68, v51
	v_mul_f16_e32 v68, 0xb93d, v41
	v_mul_f16_e32 v73, 0xb08e, v43
	;; [unrolled: 1-line block ×3, first 2 shown]
	v_add_f16_e32 v59, v69, v59
	v_sub_f16_e32 v69, v36, v35
	v_fmamk_f16 v72, v42, 0x3a0c, v68
	v_add_f16_e32 v75, v11, v20
	v_fmamk_f16 v74, v70, 0x36a6, v71
	v_fmamk_f16 v77, v44, 0xbbeb, v73
	v_mul_f16_e32 v76, 0xbbeb, v69
	v_add_f16_sdwa v72, v72, v17 dst_sel:DWORD dst_unused:UNUSED_PAD src0_sel:DWORD src1_sel:WORD_1
	v_mul_f16_e32 v78, 0x3abb, v45
	v_add_f16_e32 v59, v74, v59
	v_mul_f16_e32 v79, 0xba0c, v56
	v_fmamk_f16 v74, v75, 0xb08e, v76
	v_add_f16_e32 v72, v77, v72
	v_fmamk_f16 v77, v47, 0x3853, v78
	v_mul_f16_e32 v80, 0xbbad, v48
	v_mul_f16_e32 v81, 0x3beb, v60
	v_add_f16_e32 v59, v74, v59
	v_fmamk_f16 v74, v57, 0xb93d, v79
	v_add_f16_e32 v72, v77, v72
	v_fmamk_f16 v77, v49, 0x3482, v80
	v_mul_f16_e32 v82, 0x36a6, v52
	v_fmamk_f16 v83, v61, 0xb08e, v81
	v_add_f16_e32 v74, v74, v17
	v_mul_f16_e32 v84, 0xb853, v64
	v_fmac_f16_e32 v46, 0xb482, v42
	v_add_f16_e32 v72, v77, v72
	v_fmamk_f16 v77, v53, 0xbb47, v82
	v_mul_f16_e32 v85, 0xb08e, v41
	v_add_f16_e32 v74, v83, v74
	v_fmamk_f16 v83, v66, 0x3abb, v84
	v_mul_f16_e32 v86, 0xb482, v62
	v_add_f16_sdwa v46, v46, v17 dst_sel:DWORD dst_unused:UNUSED_PAD src0_sel:DWORD src1_sel:WORD_1
	v_fmac_f16_e32 v50, 0x3853, v44
	v_fma_f16 v55, v57, 0xbbad, -v55
	v_add_f16_e32 v72, v77, v72
	v_fmamk_f16 v77, v42, 0x3beb, v85
	v_mul_f16_e32 v87, 0xbbad, v43
	v_add_f16_e32 v74, v83, v74
	v_fmamk_f16 v83, v70, 0xbbad, v86
	v_mul_f16_e32 v88, 0x3b47, v69
	v_add_f16_e32 v46, v50, v46
	v_fmac_f16_e32 v54, 0xba0c, v47
	v_add_f16_e32 v55, v55, v17
	v_fma_f16 v63, v61, 0x3abb, -v63
	v_add_f16_sdwa v77, v77, v17 dst_sel:DWORD dst_unused:UNUSED_PAD src0_sel:DWORD src1_sel:WORD_1
	v_fmamk_f16 v89, v44, 0xb482, v87
	v_mul_f16_e32 v90, 0x36a6, v45
	v_add_f16_e32 v74, v83, v74
	v_fmamk_f16 v83, v75, 0x36a6, v88
	v_mul_f16_e32 v91, 0xbbeb, v56
	v_add_f16_e32 v46, v54, v46
	v_fmac_f16_e32 v58, 0x3b47, v49
	v_add_f16_e32 v54, v63, v55
	v_fma_f16 v55, v66, 0xb93d, -v67
	v_add_f16_e32 v77, v89, v77
	v_fmamk_f16 v89, v47, 0xbb47, v90
	v_mul_f16_e32 v92, 0x3abb, v48
	v_add_f16_e32 v74, v83, v74
	v_fmamk_f16 v83, v57, 0xb08e, v91
	v_mul_f16_e32 v93, 0x3482, v60
	v_add_f16_e32 v46, v58, v46
	v_fmac_f16_e32 v65, 0xbbeb, v53
	v_add_f16_e32 v54, v55, v54
	v_fma_f16 v55, v70, 0x36a6, -v71
	v_fma_f16 v63, v57, 0xb93d, -v79
	v_add_f16_e32 v77, v89, v77
	v_fmamk_f16 v89, v49, 0x3853, v92
	v_mul_f16_e32 v94, 0xb93d, v52
	v_add_f16_e32 v83, v83, v17
	v_fmamk_f16 v95, v61, 0xbbad, v93
	v_mul_f16_e32 v96, 0x3b47, v64
	v_add_f16_e32 v46, v65, v46
	v_add_f16_e32 v54, v55, v54
	v_fma_f16 v55, v75, 0xb08e, -v76
	v_add_f16_e32 v63, v63, v17
	v_fma_f16 v65, v61, 0xb08e, -v81
	v_add_f16_e32 v77, v89, v77
	v_fmamk_f16 v89, v53, 0x3a0c, v94
	v_mul_f16_e32 v97, 0x36a6, v41
	v_add_f16_e32 v83, v95, v83
	v_fmamk_f16 v95, v66, 0x36a6, v96
	v_mul_f16_e32 v98, 0xb853, v62
	v_add_f16_e32 v54, v55, v54
	v_add_f16_e32 v55, v65, v63
	v_fma_f16 v63, v66, 0x3abb, -v84
	v_add_f16_e32 v77, v89, v77
	v_fmamk_f16 v89, v42, 0x3b47, v97
	v_mul_f16_e32 v99, 0xb93d, v43
	v_add_f16_e32 v83, v95, v83
	v_fmamk_f16 v95, v70, 0x3abb, v98
	v_mul_f16_e32 v100, 0xba0c, v69
	v_add_f16_e32 v55, v63, v55
	v_fma_f16 v63, v70, 0xbbad, -v86
	v_fma_f16 v67, v57, 0xb08e, -v91
	v_add_f16_sdwa v89, v89, v17 dst_sel:DWORD dst_unused:UNUSED_PAD src0_sel:DWORD src1_sel:WORD_1
	v_fmamk_f16 v101, v44, 0x3a0c, v99
	v_mul_f16_e32 v102, 0xbbad, v45
	v_add_f16_e32 v83, v95, v83
	v_fmamk_f16 v95, v75, 0xb93d, v100
	v_mul_f16_e32 v103, 0xbb47, v56
	v_fmac_f16_e32 v68, 0xba0c, v42
	v_add_f16_e32 v55, v63, v55
	v_add_f16_e32 v63, v67, v17
	v_fma_f16 v67, v61, 0xbbad, -v93
	v_fmac_f16_e32 v97, 0xbb47, v42
	v_add_f16_e32 v89, v101, v89
	v_fmamk_f16 v101, v47, 0xb482, v102
	v_mul_f16_e32 v104, 0xb08e, v48
	v_add_f16_e32 v83, v95, v83
	v_fmamk_f16 v95, v57, 0x36a6, v103
	v_mul_f16_e32 v105, 0xba0c, v60
	v_add_f16_sdwa v58, v68, v17 dst_sel:DWORD dst_unused:UNUSED_PAD src0_sel:DWORD src1_sel:WORD_1
	v_fma_f16 v68, v75, 0x36a6, -v88
	v_add_f16_e32 v63, v67, v63
	v_fma_f16 v67, v66, 0x36a6, -v96
	v_add_f16_sdwa v71, v97, v17 dst_sel:DWORD dst_unused:UNUSED_PAD src0_sel:DWORD src1_sel:WORD_1
	v_fmac_f16_e32 v99, 0xba0c, v44
	v_add_f16_sdwa v40, v40, v17 dst_sel:DWORD dst_unused:UNUSED_PAD src0_sel:DWORD src1_sel:WORD_1
	v_add_f16_e32 v18, v18, v17
	v_add_f16_e32 v89, v101, v89
	v_fmamk_f16 v101, v49, 0xbbeb, v104
	v_mul_f16_e32 v106, 0x3abb, v52
	v_add_f16_e32 v95, v95, v17
	v_fmamk_f16 v107, v61, 0xb93d, v105
	v_mul_f16_e32 v108, 0x3482, v64
	v_fmac_f16_e32 v73, 0x3beb, v44
	v_add_f16_e32 v63, v67, v63
	v_fma_f16 v67, v70, 0x3abb, -v98
	v_add_f16_e32 v55, v68, v55
	v_add_f16_e32 v68, v99, v71
	v_fma_f16 v71, v57, 0x36a6, -v103
	v_add_f16_e32 v39, v39, v40
	v_add_f16_e32 v18, v21, v18
	;; [unrolled: 1-line block ×3, first 2 shown]
	v_fmamk_f16 v101, v53, 0xb853, v106
	v_mul_f16_e32 v41, 0x3abb, v41
	v_add_f16_e32 v95, v107, v95
	v_fmamk_f16 v107, v66, 0xbbad, v108
	v_mul_f16_e32 v109, 0x3beb, v62
	v_add_f16_e32 v58, v73, v58
	v_add_f16_e32 v63, v67, v63
	v_fma_f16 v67, v75, 0xb93d, -v100
	v_add_f16_e32 v71, v71, v17
	v_fma_f16 v73, v61, 0xb93d, -v105
	v_add_f16_e32 v38, v38, v39
	v_add_f16_e32 v18, v22, v18
	;; [unrolled: 1-line block ×3, first 2 shown]
	v_fmamk_f16 v101, v42, 0x3853, v41
	v_mul_f16_e32 v43, 0x36a6, v43
	v_add_f16_e32 v95, v107, v95
	v_fmamk_f16 v107, v70, 0xb08e, v109
	v_mul_f16_e32 v110, 0x3853, v69
	v_add_f16_e32 v21, v67, v63
	v_add_f16_e32 v63, v73, v71
	v_fma_f16 v22, v66, 0xbbad, -v108
	v_add_f16_e32 v37, v37, v38
	v_add_f16_e32 v18, v19, v18
	v_add_f16_sdwa v101, v101, v17 dst_sel:DWORD dst_unused:UNUSED_PAD src0_sel:DWORD src1_sel:WORD_1
	v_fmamk_f16 v111, v44, 0x3b47, v43
	v_mul_f16_e32 v45, 0xb08e, v45
	v_add_f16_e32 v95, v107, v95
	v_fmamk_f16 v107, v75, 0x3abb, v110
	v_mul_f16_e32 v56, 0xb853, v56
	v_add_f16_e32 v19, v22, v63
	v_fma_f16 v22, v70, 0xb08e, -v109
	v_add_f16_e32 v36, v36, v37
	v_add_f16_e32 v18, v20, v18
	v_add_f16_e32 v101, v111, v101
	v_fmamk_f16 v111, v47, 0x3beb, v45
	v_mul_f16_e32 v48, 0xb93d, v48
	v_add_f16_e32 v95, v107, v95
	v_fmamk_f16 v107, v57, 0x3abb, v56
	v_mul_f16_e32 v60, 0xbb47, v60
	v_fmac_f16_e32 v85, 0xbbeb, v42
	v_fmac_f16_e32 v41, 0xb853, v42
	v_add_f16_e32 v19, v22, v19
	v_fma_f16 v20, v57, 0x3abb, -v56
	v_add_f16_e32 v22, v35, v36
	v_add_f16_e32 v11, v11, v18
	;; [unrolled: 1-line block ×3, first 2 shown]
	v_fmamk_f16 v111, v49, 0x3a0c, v48
	v_mul_f16_e32 v52, 0xbbad, v52
	v_add_f16_e32 v107, v107, v17
	v_fmamk_f16 v112, v61, 0x36a6, v60
	v_mul_f16_e32 v64, 0xbbeb, v64
	v_add_f16_sdwa v65, v85, v17 dst_sel:DWORD dst_unused:UNUSED_PAD src0_sel:DWORD src1_sel:WORD_1
	v_add_f16_sdwa v38, v41, v17 dst_sel:DWORD dst_unused:UNUSED_PAD src0_sel:DWORD src1_sel:WORD_1
	v_fmac_f16_e32 v43, 0xbb47, v44
	v_add_f16_e32 v17, v20, v17
	v_add_f16_e32 v20, v32, v22
	;; [unrolled: 1-line block ×3, first 2 shown]
	v_fmac_f16_e32 v87, 0x3482, v44
	v_fma_f16 v12, v61, 0x36a6, -v60
	v_add_f16_e32 v101, v111, v101
	v_fmamk_f16 v111, v53, 0x3482, v52
	v_add_f16_e32 v107, v112, v107
	v_fmamk_f16 v112, v66, 0xb08e, v64
	v_mul_f16_e32 v62, 0xba0c, v62
	v_add_f16_e32 v18, v43, v38
	v_fmac_f16_e32 v45, 0xbbeb, v47
	v_add_f16_e32 v20, v31, v20
	v_add_f16_e32 v9, v9, v11
	v_fmac_f16_e32 v78, 0xb853, v47
	v_add_f16_e32 v65, v87, v65
	v_fmac_f16_e32 v90, 0x3b47, v47
	v_fmac_f16_e32 v102, 0x3482, v47
	v_add_f16_e32 v11, v12, v17
	v_fma_f16 v12, v66, 0xb08e, -v64
	v_add_f16_e32 v101, v111, v101
	v_add_f16_e32 v107, v112, v107
	v_fmamk_f16 v111, v70, 0xb93d, v62
	v_mul_f16_e32 v69, 0xb482, v69
	v_add_f16_e32 v18, v45, v18
	v_fmac_f16_e32 v48, 0xba0c, v49
	v_add_f16_e32 v20, v30, v20
	v_add_f16_e32 v9, v10, v9
	;; [unrolled: 1-line block ×3, first 2 shown]
	v_fmac_f16_e32 v80, 0xb482, v49
	v_add_f16_e32 v65, v90, v65
	v_fmac_f16_e32 v92, 0xb853, v49
	v_add_f16_e32 v68, v102, v68
	;; [unrolled: 2-line block ×3, first 2 shown]
	v_fma_f16 v12, v70, 0xb93d, -v62
	v_add_f16_e32 v50, v111, v107
	v_fmamk_f16 v107, v75, 0xbbad, v69
	v_add_f16_e32 v10, v48, v18
	v_add_f16_sdwa v18, v29, v20 dst_sel:WORD_1 dst_unused:UNUSED_PAD src0_sel:DWORD src1_sel:DWORD
	v_add_f16_e32 v9, v28, v9
	v_and_b32_e32 v20, 0xffff, v27
	v_add_f16_e32 v58, v80, v58
	v_fmac_f16_e32 v82, 0x3b47, v53
	v_add_f16_e32 v65, v92, v65
	v_fmac_f16_e32 v94, 0xba0c, v53
	;; [unrolled: 2-line block ×3, first 2 shown]
	v_fma_f16 v17, v75, 0x3abb, -v110
	v_fmac_f16_e32 v52, 0xb482, v53
	v_add_f16_e32 v11, v12, v11
	v_fma_f16 v12, v75, 0xbbad, -v69
	v_add_f16_e32 v50, v107, v50
	v_or_b32_sdwa v9, v18, v9 dst_sel:DWORD dst_unused:UNUSED_PAD src0_sel:DWORD src1_sel:WORD_0
	v_lshl_add_u32 v18, v20, 2, v25
	v_add_f16_e32 v58, v82, v58
	v_add_f16_e32 v65, v94, v65
	;; [unrolled: 1-line block ×6, first 2 shown]
	ds_write_b32 v18, v9
	v_pack_b32_f16 v9, v95, v89
	v_pack_b32_f16 v12, v50, v101
	v_pack_b32_f16 v19, v74, v72
	v_pack_b32_f16 v22, v83, v77
	v_pack_b32_f16 v25, v54, v46
	v_pack_b32_f16 v27, v59, v51
	v_pack_b32_f16 v21, v21, v65
	v_pack_b32_f16 v28, v55, v58
	v_pack_b32_f16 v10, v11, v10
	v_pack_b32_f16 v11, v17, v20
	ds_write2_b32 v18, v12, v9 offset0:1 offset1:2
	ds_write2_b32 v18, v22, v19 offset0:3 offset1:4
	;; [unrolled: 1-line block ×5, first 2 shown]
.LBB0_13:
	s_or_b32 exec_lo, exec_lo, s0
	s_waitcnt lgkmcnt(0)
	s_barrier
	buffer_gl0_inv
	ds_read2_b32 v[9:10], v33 offset1:77
	ds_read2_b32 v[11:12], v33 offset0:154 offset1:231
	v_add_nc_u32_e32 v19, 0x400, v33
	ds_read_b32 v20, v33 offset:1848
	ds_read2_b32 v[17:18], v19 offset0:52 offset1:129
	s_waitcnt lgkmcnt(0)
	s_barrier
	buffer_gl0_inv
	v_lshrrev_b32_e32 v21, 16, v10
	v_lshrrev_b32_e32 v22, 16, v11
	;; [unrolled: 1-line block ×3, first 2 shown]
	v_mul_f16_sdwa v28, v0, v10 dst_sel:DWORD dst_unused:UNUSED_PAD src0_sel:WORD_1 src1_sel:DWORD
	v_mul_f16_sdwa v29, v1, v11 dst_sel:DWORD dst_unused:UNUSED_PAD src0_sel:WORD_1 src1_sel:DWORD
	;; [unrolled: 1-line block ×3, first 2 shown]
	v_lshrrev_b32_e32 v32, 16, v17
	v_mul_f16_sdwa v36, v0, v21 dst_sel:DWORD dst_unused:UNUSED_PAD src0_sel:WORD_1 src1_sel:DWORD
	v_lshrrev_b32_e32 v27, 16, v20
	v_mul_f16_sdwa v31, v14, v20 dst_sel:DWORD dst_unused:UNUSED_PAD src0_sel:WORD_1 src1_sel:DWORD
	v_lshrrev_b32_e32 v35, 16, v18
	v_fma_f16 v21, v0, v21, -v28
	v_mul_f16_sdwa v28, v1, v22 dst_sel:DWORD dst_unused:UNUSED_PAD src0_sel:WORD_1 src1_sel:DWORD
	v_fma_f16 v22, v1, v22, -v29
	v_mul_f16_sdwa v29, v2, v25 dst_sel:DWORD dst_unused:UNUSED_PAD src0_sel:WORD_1 src1_sel:DWORD
	;; [unrolled: 2-line block ×3, first 2 shown]
	v_mul_f16_sdwa v37, v13, v18 dst_sel:DWORD dst_unused:UNUSED_PAD src0_sel:WORD_1 src1_sel:DWORD
	v_fmac_f16_e32 v36, v0, v10
	v_mul_f16_sdwa v0, v3, v32 dst_sel:DWORD dst_unused:UNUSED_PAD src0_sel:WORD_1 src1_sel:DWORD
	v_mul_f16_sdwa v38, v14, v27 dst_sel:DWORD dst_unused:UNUSED_PAD src0_sel:WORD_1 src1_sel:DWORD
	v_fma_f16 v27, v14, v27, -v31
	v_fmac_f16_e32 v28, v1, v11
	v_mul_f16_sdwa v1, v13, v35 dst_sel:DWORD dst_unused:UNUSED_PAD src0_sel:WORD_1 src1_sel:DWORD
	v_fmac_f16_e32 v29, v2, v12
	v_fma_f16 v2, v3, v32, -v30
	v_fmac_f16_e32 v0, v3, v17
	v_fma_f16 v3, v13, v35, -v37
	v_fmac_f16_e32 v38, v14, v20
	v_fmac_f16_e32 v1, v13, v18
	v_add_f16_e32 v11, v21, v27
	v_add_f16_e32 v20, v25, v2
	;; [unrolled: 1-line block ×5, first 2 shown]
	v_sub_f16_e32 v3, v22, v3
	v_sub_f16_e32 v13, v21, v27
	v_add_f16_e32 v22, v17, v11
	v_add_f16_e32 v18, v29, v0
	;; [unrolled: 1-line block ×3, first 2 shown]
	v_sub_f16_e32 v27, v17, v11
	v_sub_f16_e32 v11, v11, v20
	;; [unrolled: 1-line block ×3, first 2 shown]
	v_add_f16_e32 v20, v20, v22
	v_sub_f16_e32 v1, v28, v1
	v_sub_f16_e32 v0, v0, v29
	;; [unrolled: 1-line block ×6, first 2 shown]
	v_add_f16_e32 v18, v18, v21
	v_add_f16_sdwa v21, v20, v9 dst_sel:DWORD dst_unused:UNUSED_PAD src0_sel:DWORD src1_sel:WORD_1
	v_sub_f16_e32 v12, v36, v38
	v_add_f16_e32 v22, v0, v1
	v_add_f16_e32 v28, v2, v3
	v_sub_f16_e32 v29, v0, v1
	v_sub_f16_e32 v30, v2, v3
	v_add_f16_e32 v9, v18, v9
	v_lshlrev_b32_e32 v31, 16, v21
	v_sub_f16_e32 v1, v1, v12
	v_sub_f16_e32 v3, v3, v13
	;; [unrolled: 1-line block ×4, first 2 shown]
	v_add_f16_e32 v12, v22, v12
	v_add_f16_e32 v13, v28, v13
	v_or_b32_sdwa v22, v31, v9 dst_sel:DWORD dst_unused:UNUSED_PAD src0_sel:DWORD src1_sel:WORD_0
	v_mul_f16_e32 v10, 0x3a52, v10
	v_mul_f16_e32 v11, 0x3a52, v11
	;; [unrolled: 1-line block ×8, first 2 shown]
	v_fmac_f16_e32 v9, 0xbcab, v18
	v_fmac_f16_e32 v21, 0xbcab, v20
	v_fmamk_f16 v14, v14, 0x2b26, v10
	v_fmamk_f16 v17, v17, 0x2b26, v11
	v_fma_f16 v18, v25, 0x39e0, -v28
	v_fma_f16 v20, v27, 0x39e0, -v31
	;; [unrolled: 1-line block ×4, first 2 shown]
	v_fmamk_f16 v25, v0, 0xb574, v29
	v_fmamk_f16 v27, v2, 0xb574, v30
	v_fma_f16 v1, v1, 0xbb00, -v29
	v_fma_f16 v3, v3, 0xbb00, -v30
	v_fma_f16 v0, v0, 0x3574, -v32
	v_fma_f16 v2, v2, 0x3574, -v35
	v_add_f16_e32 v14, v14, v9
	v_add_f16_e32 v17, v17, v21
	v_fmac_f16_e32 v25, 0xb70e, v12
	v_fmac_f16_e32 v27, 0xb70e, v13
	v_add_f16_e32 v18, v18, v9
	v_add_f16_e32 v20, v20, v21
	;; [unrolled: 1-line block ×4, first 2 shown]
	v_fmac_f16_e32 v1, 0xb70e, v12
	v_fmac_f16_e32 v2, 0xb70e, v13
	;; [unrolled: 1-line block ×4, first 2 shown]
	v_add_f16_e32 v11, v27, v14
	v_sub_f16_e32 v12, v17, v25
	v_add_f16_e32 v13, v2, v9
	v_sub_f16_e32 v21, v10, v0
	v_sub_f16_e32 v28, v18, v3
	v_add_f16_e32 v29, v1, v20
	v_add_f16_e32 v3, v3, v18
	v_sub_f16_e32 v1, v20, v1
	v_sub_f16_e32 v2, v9, v2
	v_add_f16_e32 v0, v0, v10
	v_sub_f16_e32 v9, v14, v27
	v_add_f16_e32 v10, v25, v17
	v_pack_b32_f16 v11, v11, v12
	v_pack_b32_f16 v12, v13, v21
	;; [unrolled: 1-line block ×6, first 2 shown]
	ds_write2_b32 v34, v22, v11 offset1:11
	ds_write2_b32 v34, v12, v13 offset0:22 offset1:33
	ds_write2_b32 v34, v1, v0 offset0:44 offset1:55
	ds_write_b32 v34, v2 offset:264
	s_waitcnt lgkmcnt(0)
	s_barrier
	buffer_gl0_inv
	ds_read2_b32 v[0:1], v33 offset1:77
	ds_read2_b32 v[2:3], v33 offset0:154 offset1:231
	ds_read2_b32 v[9:10], v19 offset0:52 offset1:129
	ds_read_b32 v11, v33 offset:1848
	s_waitcnt lgkmcnt(3)
	v_lshrrev_b32_e32 v12, 16, v1
	s_waitcnt lgkmcnt(2)
	v_lshrrev_b32_e32 v13, 16, v2
	v_lshrrev_b32_e32 v14, 16, v3
	v_mul_f16_sdwa v18, v4, v1 dst_sel:DWORD dst_unused:UNUSED_PAD src0_sel:WORD_1 src1_sel:DWORD
	s_waitcnt lgkmcnt(1)
	v_lshrrev_b32_e32 v19, 16, v9
	v_mul_f16_sdwa v17, v4, v12 dst_sel:DWORD dst_unused:UNUSED_PAD src0_sel:WORD_1 src1_sel:DWORD
	v_mul_f16_sdwa v22, v6, v3 dst_sel:DWORD dst_unused:UNUSED_PAD src0_sel:WORD_1 src1_sel:DWORD
	v_lshrrev_b32_e32 v20, 16, v10
	s_waitcnt lgkmcnt(0)
	v_lshrrev_b32_e32 v21, 16, v11
	v_mul_f16_sdwa v25, v7, v19 dst_sel:DWORD dst_unused:UNUSED_PAD src0_sel:WORD_1 src1_sel:DWORD
	v_fmac_f16_e32 v17, v4, v1
	v_fma_f16 v1, v4, v12, -v18
	v_mul_f16_sdwa v4, v5, v13 dst_sel:DWORD dst_unused:UNUSED_PAD src0_sel:WORD_1 src1_sel:DWORD
	v_mul_f16_sdwa v12, v5, v2 dst_sel:DWORD dst_unused:UNUSED_PAD src0_sel:WORD_1 src1_sel:DWORD
	;; [unrolled: 1-line block ×3, first 2 shown]
	v_fmac_f16_e32 v25, v7, v9
	v_mul_f16_sdwa v9, v7, v9 dst_sel:DWORD dst_unused:UNUSED_PAD src0_sel:WORD_1 src1_sel:DWORD
	v_fmac_f16_e32 v4, v5, v2
	v_fma_f16 v2, v5, v13, -v12
	v_fmac_f16_e32 v18, v6, v3
	v_fma_f16 v3, v6, v14, -v22
	v_mul_f16_sdwa v6, v16, v11 dst_sel:DWORD dst_unused:UNUSED_PAD src0_sel:WORD_1 src1_sel:DWORD
	v_mul_f16_sdwa v13, v15, v10 dst_sel:DWORD dst_unused:UNUSED_PAD src0_sel:WORD_1 src1_sel:DWORD
	;; [unrolled: 1-line block ×4, first 2 shown]
	v_fma_f16 v7, v7, v19, -v9
	v_fma_f16 v6, v16, v21, -v6
	;; [unrolled: 1-line block ×3, first 2 shown]
	v_fmac_f16_e32 v5, v16, v11
	v_fmac_f16_e32 v12, v15, v10
	v_sub_f16_e32 v14, v25, v18
	v_add_f16_e32 v11, v1, v6
	v_add_f16_e32 v13, v2, v9
	v_add_f16_e32 v10, v17, v5
	v_sub_f16_e32 v1, v1, v6
	v_add_f16_e32 v6, v4, v12
	v_sub_f16_e32 v4, v4, v12
	v_add_f16_e32 v12, v3, v7
	v_add_f16_e32 v15, v13, v11
	v_sub_f16_e32 v5, v17, v5
	v_sub_f16_e32 v2, v2, v9
	v_add_f16_e32 v9, v18, v25
	v_sub_f16_e32 v3, v7, v3
	v_add_f16_e32 v7, v6, v10
	v_sub_f16_e32 v17, v13, v11
	v_sub_f16_e32 v11, v11, v12
	;; [unrolled: 1-line block ×3, first 2 shown]
	v_add_f16_e32 v12, v12, v15
	v_sub_f16_e32 v16, v6, v10
	v_sub_f16_e32 v10, v10, v9
	v_sub_f16_e32 v6, v9, v6
	v_add_f16_e32 v7, v9, v7
	v_add_f16_sdwa v9, v12, v0 dst_sel:DWORD dst_unused:UNUSED_PAD src0_sel:DWORD src1_sel:WORD_1
	v_add_f16_e32 v15, v14, v4
	v_add_f16_e32 v18, v3, v2
	v_sub_f16_e32 v19, v14, v4
	v_sub_f16_e32 v20, v3, v2
	v_add_f16_e32 v0, v7, v0
	v_lshlrev_b32_e32 v21, 16, v9
	v_sub_f16_e32 v4, v4, v5
	v_sub_f16_e32 v2, v2, v1
	;; [unrolled: 1-line block ×4, first 2 shown]
	v_add_f16_e32 v5, v15, v5
	v_add_f16_e32 v1, v18, v1
	v_or_b32_sdwa v15, v21, v0 dst_sel:DWORD dst_unused:UNUSED_PAD src0_sel:DWORD src1_sel:WORD_0
	v_mul_f16_e32 v10, 0x3a52, v10
	v_mul_f16_e32 v11, 0x3a52, v11
	;; [unrolled: 1-line block ×8, first 2 shown]
	v_fmac_f16_e32 v0, 0xbcab, v7
	v_fmac_f16_e32 v9, 0xbcab, v12
	v_fmamk_f16 v6, v6, 0x2b26, v10
	v_fmamk_f16 v7, v13, 0x2b26, v11
	v_fma_f16 v12, v16, 0x39e0, -v18
	v_fma_f16 v13, v17, 0x39e0, -v21
	;; [unrolled: 1-line block ×4, first 2 shown]
	v_fmamk_f16 v16, v14, 0xb574, v19
	v_fmamk_f16 v17, v3, 0xb574, v20
	v_fma_f16 v4, v4, 0xbb00, -v19
	v_fma_f16 v2, v2, 0xbb00, -v20
	;; [unrolled: 1-line block ×4, first 2 shown]
	v_add_f16_e32 v6, v6, v0
	v_add_f16_e32 v7, v7, v9
	v_fmac_f16_e32 v16, 0xb70e, v5
	v_fmac_f16_e32 v17, 0xb70e, v1
	v_add_f16_e32 v12, v12, v0
	v_add_f16_e32 v13, v13, v9
	v_add_f16_e32 v0, v10, v0
	v_add_f16_e32 v9, v11, v9
	v_fmac_f16_e32 v4, 0xb70e, v5
	v_fmac_f16_e32 v3, 0xb70e, v1
	;; [unrolled: 1-line block ×4, first 2 shown]
	v_add_f16_e32 v1, v17, v6
	v_sub_f16_e32 v5, v7, v16
	v_add_f16_e32 v10, v3, v0
	v_sub_f16_e32 v11, v9, v14
	v_sub_f16_e32 v18, v12, v2
	v_add_f16_e32 v19, v4, v13
	v_add_f16_e32 v2, v2, v12
	v_sub_f16_e32 v4, v13, v4
	v_sub_f16_e32 v0, v0, v3
	v_add_f16_e32 v3, v14, v9
	v_sub_f16_e32 v9, v6, v17
	v_add_f16_e32 v7, v16, v7
	v_pack_b32_f16 v1, v1, v5
	v_add_nc_u32_e32 v6, 0x400, v26
	v_pack_b32_f16 v5, v10, v11
	v_pack_b32_f16 v10, v18, v19
	;; [unrolled: 1-line block ×5, first 2 shown]
	ds_write2_b32 v26, v15, v1 offset1:77
	ds_write2_b32 v26, v5, v10 offset0:154 offset1:231
	ds_write2_b32 v6, v2, v0 offset0:52 offset1:129
	ds_write_b32 v26, v3 offset:1848
	s_waitcnt lgkmcnt(0)
	s_barrier
	buffer_gl0_inv
	s_and_b32 exec_lo, exec_lo, vcc_lo
	s_cbranch_execz .LBB0_15
; %bb.14:
	s_clause 0x5
	global_load_dword v2, v23, s[20:21]
	global_load_dword v3, v23, s[20:21] offset:196
	global_load_dword v4, v23, s[20:21] offset:392
	global_load_dword v5, v23, s[20:21] offset:588
	global_load_dword v22, v23, s[20:21] offset:784
	global_load_dword v25, v23, s[20:21] offset:980
	v_mad_u64_u32 v[11:12], null, s6, v8, 0
	v_mad_u64_u32 v[13:14], null, s4, v24, 0
	v_add_nc_u32_e32 v1, 0x200, v26
	ds_read_b32 v27, v26
	ds_read2_b32 v[15:16], v26 offset0:49 offset1:98
	ds_read2_b32 v[17:18], v26 offset0:147 offset1:196
	v_mov_b32_e32 v0, v12
	s_mov_b32 s22, 0xdbe74d6b
	v_mov_b32_e32 v7, v14
	s_mov_b32 s23, 0x3f5e65a3
	s_mul_i32 s0, s5, 0xc4
	v_mad_u64_u32 v[19:20], null, s7, v8, v[0:1]
	v_mad_u64_u32 v[20:21], null, s5, v24, v[7:8]
	ds_read2_b32 v[0:1], v1 offset0:117 offset1:166
	s_mul_hi_u32 s24, s4, 0xc4
	s_mul_i32 s19, s4, 0xc4
	s_add_i32 s24, s24, s0
	v_mov_b32_e32 v12, v19
	s_clause 0x3
	global_load_dword v7, v23, s[20:21] offset:1176
	global_load_dword v8, v23, s[20:21] offset:1372
	;; [unrolled: 1-line block ×4, first 2 shown]
	v_mov_b32_e32 v14, v20
	s_waitcnt lgkmcnt(3)
	v_lshrrev_b32_e32 v19, 16, v27
	v_lshlrev_b64 v[11:12], 2, v[11:12]
	s_waitcnt lgkmcnt(2)
	v_lshrrev_b32_e32 v21, 16, v15
	v_lshlrev_b64 v[13:14], 2, v[13:14]
	v_lshrrev_b32_e32 v20, 16, v16
	s_waitcnt lgkmcnt(1)
	v_lshrrev_b32_e32 v24, 16, v17
	v_lshrrev_b32_e32 v26, 16, v18
	v_add_co_u32 v11, vcc_lo, s12, v11
	v_add_co_ci_u32_e32 v12, vcc_lo, s13, v12, vcc_lo
	v_add_co_u32 v11, vcc_lo, v11, v13
	v_add_co_ci_u32_e32 v12, vcc_lo, v12, v14, vcc_lo
	s_waitcnt lgkmcnt(0)
	v_lshrrev_b32_e32 v28, 16, v0
	s_waitcnt vmcnt(9)
	v_mul_f16_sdwa v13, v19, v2 dst_sel:DWORD dst_unused:UNUSED_PAD src0_sel:DWORD src1_sel:WORD_1
	v_mul_f16_sdwa v14, v27, v2 dst_sel:DWORD dst_unused:UNUSED_PAD src0_sel:DWORD src1_sel:WORD_1
	s_waitcnt vmcnt(8)
	v_mul_f16_sdwa v29, v21, v3 dst_sel:DWORD dst_unused:UNUSED_PAD src0_sel:DWORD src1_sel:WORD_1
	v_mul_f16_sdwa v30, v15, v3 dst_sel:DWORD dst_unused:UNUSED_PAD src0_sel:DWORD src1_sel:WORD_1
	s_waitcnt vmcnt(7)
	v_mul_f16_sdwa v31, v20, v4 dst_sel:DWORD dst_unused:UNUSED_PAD src0_sel:DWORD src1_sel:WORD_1
	v_fmac_f16_e32 v13, v27, v2
	v_mul_f16_sdwa v32, v16, v4 dst_sel:DWORD dst_unused:UNUSED_PAD src0_sel:DWORD src1_sel:WORD_1
	s_waitcnt vmcnt(6)
	v_mul_f16_sdwa v33, v24, v5 dst_sel:DWORD dst_unused:UNUSED_PAD src0_sel:DWORD src1_sel:WORD_1
	v_mul_f16_sdwa v34, v17, v5 dst_sel:DWORD dst_unused:UNUSED_PAD src0_sel:DWORD src1_sel:WORD_1
	v_fma_f16 v2, v2, v19, -v14
	v_fmac_f16_e32 v29, v15, v3
	v_fma_f16 v14, v3, v21, -v30
	v_cvt_f32_f16_e32 v3, v13
	s_waitcnt vmcnt(5)
	v_mul_f16_sdwa v36, v18, v22 dst_sel:DWORD dst_unused:UNUSED_PAD src0_sel:DWORD src1_sel:WORD_1
	v_fmac_f16_e32 v31, v16, v4
	v_fma_f16 v4, v4, v20, -v32
	v_fmac_f16_e32 v33, v17, v5
	v_fma_f16 v15, v5, v24, -v34
	v_cvt_f32_f16_e32 v5, v2
	v_cvt_f64_f32_e32 v[2:3], v3
	s_waitcnt vmcnt(4)
	v_mul_f16_sdwa v37, v28, v25 dst_sel:DWORD dst_unused:UNUSED_PAD src0_sel:DWORD src1_sel:WORD_1
	v_mul_f16_sdwa v38, v0, v25 dst_sel:DWORD dst_unused:UNUSED_PAD src0_sel:DWORD src1_sel:WORD_1
	v_fma_f16 v13, v22, v26, -v36
	v_cvt_f32_f16_e32 v16, v29
	v_cvt_f32_f16_e32 v19, v4
	v_cvt_f64_f32_e32 v[4:5], v5
	v_mul_f16_sdwa v35, v26, v22 dst_sel:DWORD dst_unused:UNUSED_PAD src0_sel:DWORD src1_sel:WORD_1
	v_fmac_f16_e32 v37, v0, v25
	v_fma_f16 v0, v25, v28, -v38
	v_cvt_f32_f16_e32 v17, v14
	v_cvt_f32_f16_e32 v28, v13
	v_cvt_f64_f32_e32 v[13:14], v16
	v_fmac_f16_e32 v35, v18, v22
	v_cvt_f32_f16_e32 v18, v31
	v_cvt_f32_f16_e32 v24, v15
	v_cvt_f64_f32_e32 v[15:16], v17
	v_cvt_f32_f16_e32 v0, v0
	v_cvt_f32_f16_e32 v26, v35
	v_cvt_f64_f32_e32 v[17:18], v18
	v_cvt_f32_f16_e32 v21, v33
	v_cvt_f64_f32_e32 v[19:20], v19
	v_mul_f64 v[34:35], v[2:3], s[22:23]
	v_cvt_f64_f32_e32 v[32:33], v0
	v_cvt_f64_f32_e32 v[24:25], v24
	;; [unrolled: 1-line block ×3, first 2 shown]
	v_add_co_u32 v36, vcc_lo, v11, s19
	v_mul_f64 v[38:39], v[4:5], s[22:23]
	v_cvt_f32_f16_e32 v30, v37
	v_add_co_ci_u32_e32 v37, vcc_lo, s24, v12, vcc_lo
	v_cvt_f64_f32_e32 v[26:27], v26
	v_add_co_u32 v40, vcc_lo, v36, s19
	v_mul_f64 v[13:14], v[13:14], s[22:23]
	v_add_co_ci_u32_e32 v41, vcc_lo, s24, v37, vcc_lo
	v_mul_f64 v[15:16], v[15:16], s[22:23]
	v_cvt_f64_f32_e32 v[28:29], v28
	v_add_co_u32 v42, vcc_lo, v40, s19
	v_mul_f64 v[17:18], v[17:18], s[22:23]
	v_mul_f64 v[19:20], v[19:20], s[22:23]
	v_and_or_b32 v0, 0x1ff, v35, v34
	v_add_co_ci_u32_e32 v43, vcc_lo, s24, v41, vcc_lo
	v_mul_f64 v[2:3], v[32:33], s[22:23]
	v_cvt_f64_f32_e32 v[30:31], v30
	v_cmp_ne_u32_e32 vcc_lo, 0, v0
	v_and_or_b32 v33, 0x1ff, v39, v38
	v_mul_f64 v[21:22], v[21:22], s[22:23]
	v_mul_f64 v[24:25], v[24:25], s[22:23]
	v_lshrrev_b32_e32 v32, 16, v35
	v_cndmask_b32_e64 v0, 0, 1, vcc_lo
	v_cmp_ne_u32_e32 vcc_lo, 0, v33
	v_mul_f64 v[26:27], v[26:27], s[22:23]
	v_and_or_b32 v13, 0x1ff, v14, v13
	v_lshrrev_b32_e32 v34, 8, v39
	v_lshrrev_b32_e32 v38, 16, v39
	v_and_or_b32 v15, 0x1ff, v16, v15
	v_cndmask_b32_e64 v33, 0, 1, vcc_lo
	v_cmp_ne_u32_e32 vcc_lo, 0, v13
	v_mul_f64 v[28:29], v[28:29], s[22:23]
	v_and_or_b32 v17, 0x1ff, v18, v17
	v_and_or_b32 v19, 0x1ff, v20, v19
	v_bfe_u32 v44, v14, 20, 11
	v_cndmask_b32_e64 v13, 0, 1, vcc_lo
	v_cmp_ne_u32_e32 vcc_lo, 0, v15
	v_bfe_u32 v46, v16, 20, 11
	v_mul_f64 v[4:5], v[30:31], s[22:23]
	v_lshrrev_b32_e32 v30, 8, v35
	v_bfe_u32 v31, v35, 20, 11
	v_cndmask_b32_e64 v15, 0, 1, vcc_lo
	v_cmp_ne_u32_e32 vcc_lo, 0, v17
	v_and_or_b32 v21, 0x1ff, v22, v21
	v_and_or_b32 v24, 0x1ff, v25, v24
	v_bfe_u32 v35, v39, 20, 11
	v_and_or_b32 v26, 0x1ff, v27, v26
	v_cndmask_b32_e64 v17, 0, 1, vcc_lo
	v_cmp_ne_u32_e32 vcc_lo, 0, v19
	v_and_or_b32 v0, 0xffe, v30, v0
	v_lshrrev_b32_e32 v39, 8, v14
	v_sub_nc_u32_e32 v61, 0x3f1, v31
	v_add_nc_u32_e32 v31, 0xfffffc10, v31
	v_cndmask_b32_e64 v19, 0, 1, vcc_lo
	v_cmp_ne_u32_e32 vcc_lo, 0, v21
	v_and_or_b32 v28, 0x1ff, v29, v28
	v_sub_nc_u32_e32 v62, 0x3f1, v35
	v_and_or_b32 v33, 0xffe, v34, v33
	v_lshrrev_b32_e32 v45, 8, v16
	v_cndmask_b32_e64 v21, 0, 1, vcc_lo
	v_cmp_ne_u32_e32 vcc_lo, 0, v24
	v_and_or_b32 v4, 0x1ff, v5, v4
	v_bfe_u32 v48, v18, 20, 11
	v_bfe_u32 v50, v20, 20, 11
	v_add_nc_u32_e32 v35, 0xfffffc10, v35
	v_cndmask_b32_e64 v24, 0, 1, vcc_lo
	v_cmp_ne_u32_e32 vcc_lo, 0, v26
	v_sub_nc_u32_e32 v63, 0x3f1, v44
	v_sub_nc_u32_e32 v64, 0x3f1, v46
	v_med3_i32 v30, v61, 0, 13
	v_med3_i32 v34, v62, 0, 13
	v_cndmask_b32_e64 v26, 0, 1, vcc_lo
	v_cmp_ne_u32_e32 vcc_lo, 0, v28
	v_and_or_b32 v13, 0xffe, v39, v13
	v_or_b32_e32 v61, 0x1000, v0
	v_lshl_or_b32 v62, v31, 12, v0
	v_lshrrev_b32_e32 v47, 8, v18
	v_cndmask_b32_e64 v28, 0, 1, vcc_lo
	v_cmp_ne_u32_e32 vcc_lo, 0, v4
	v_lshrrev_b32_e32 v49, 8, v20
	v_bfe_u32 v52, v22, 20, 11
	v_bfe_u32 v54, v25, 20, 11
	v_add_nc_u32_e32 v44, 0xfffffc10, v44
	v_cndmask_b32_e64 v4, 0, 1, vcc_lo
	v_cmp_ne_u32_e32 vcc_lo, 0, v0
	v_sub_nc_u32_e32 v65, 0x3f1, v48
	v_sub_nc_u32_e32 v66, 0x3f1, v50
	v_med3_i32 v39, v63, 0, 13
	v_and_or_b32 v15, 0xffe, v45, v15
	v_cndmask_b32_e64 v0, 0, 1, vcc_lo
	v_cmp_ne_u32_e32 vcc_lo, 0, v33
	v_med3_i32 v45, v64, 0, 13
	v_or_b32_e32 v63, 0x1000, v33
	v_lshl_or_b32 v64, v35, 12, v33
	v_lshrrev_b32_e32 v51, 8, v22
	v_cndmask_b32_e64 v33, 0, 1, vcc_lo
	v_cmp_ne_u32_e32 vcc_lo, 0, v13
	v_lshrrev_b32_e32 v53, 8, v25
	v_bfe_u32 v56, v27, 20, 11
	v_bfe_u32 v58, v29, 20, 11
	v_add_nc_u32_e32 v46, 0xfffffc10, v46
	v_sub_nc_u32_e32 v67, 0x3f1, v52
	v_sub_nc_u32_e32 v68, 0x3f1, v54
	v_and_or_b32 v17, 0xffe, v47, v17
	v_med3_i32 v47, v65, 0, 13
	v_and_or_b32 v19, 0xffe, v49, v19
	v_med3_i32 v49, v66, 0, 13
	v_or_b32_e32 v65, 0x1000, v13
	v_lshl_or_b32 v66, v44, 12, v13
	v_cndmask_b32_e64 v13, 0, 1, vcc_lo
	v_cmp_ne_u32_e32 vcc_lo, 0, v15
	v_lshrrev_b32_e32 v55, 8, v27
	v_lshrrev_b32_e32 v57, 8, v29
	v_add_nc_u32_e32 v48, 0xfffffc10, v48
	v_sub_nc_u32_e32 v69, 0x3f1, v56
	v_sub_nc_u32_e32 v70, 0x3f1, v58
	v_and_or_b32 v21, 0xffe, v51, v21
	v_med3_i32 v51, v67, 0, 13
	v_and_or_b32 v24, 0xffe, v53, v24
	v_med3_i32 v53, v68, 0, 13
	v_or_b32_e32 v67, 0x1000, v15
	v_lshl_or_b32 v68, v46, 12, v15
	v_cndmask_b32_e64 v15, 0, 1, vcc_lo
	v_cmp_ne_u32_e32 vcc_lo, 0, v17
	v_add_nc_u32_e32 v50, 0xfffffc10, v50
	v_and_or_b32 v26, 0xffe, v55, v26
	v_med3_i32 v55, v69, 0, 13
	v_and_or_b32 v28, 0xffe, v57, v28
	v_med3_i32 v57, v70, 0, 13
	v_or_b32_e32 v69, 0x1000, v17
	v_lshl_or_b32 v70, v48, 12, v17
	v_cndmask_b32_e64 v17, 0, 1, vcc_lo
	v_cmp_ne_u32_e32 vcc_lo, 0, v19
	v_add_nc_u32_e32 v52, 0xfffffc10, v52
	v_or_b32_e32 v71, 0x1000, v19
	v_lshl_or_b32 v72, v50, 12, v19
	v_add_nc_u32_e32 v54, 0xfffffc10, v54
	v_cndmask_b32_e64 v19, 0, 1, vcc_lo
	v_cmp_ne_u32_e32 vcc_lo, 0, v21
	v_or_b32_e32 v73, 0x1000, v21
	v_lshl_or_b32 v74, v52, 12, v21
	v_lshrrev_b32_e32 v81, v30, v61
	v_add_nc_u32_e32 v56, 0xfffffc10, v56
	v_cndmask_b32_e64 v21, 0, 1, vcc_lo
	v_cmp_ne_u32_e32 vcc_lo, 0, v24
	v_or_b32_e32 v75, 0x1000, v24
	v_lshl_or_b32 v76, v54, 12, v24
	v_lshrrev_b32_e32 v82, v34, v63
	v_lshlrev_b32_e32 v30, v30, v81
	v_cndmask_b32_e64 v24, 0, 1, vcc_lo
	v_cmp_ne_u32_e32 vcc_lo, 0, v26
	v_or_b32_e32 v77, 0x1000, v26
	v_lshl_or_b32 v78, v56, 12, v26
	v_lshrrev_b32_e32 v83, v39, v65
	v_lshlrev_b32_e32 v34, v34, v82
	v_cndmask_b32_e64 v26, 0, 1, vcc_lo
	v_cmp_ne_u32_e32 vcc_lo, v30, v61
	v_lshrrev_b32_e32 v84, v45, v67
	v_lshlrev_b32_e32 v39, v39, v83
	v_lshrrev_b32_e32 v85, v47, v69
	v_lshrrev_b32_e32 v86, v49, v71
	v_cndmask_b32_e64 v30, 0, 1, vcc_lo
	v_cmp_ne_u32_e32 vcc_lo, v34, v63
	v_lshlrev_b32_e32 v45, v45, v84
	v_lshlrev_b32_e32 v47, v47, v85
	v_lshrrev_b32_e32 v87, v51, v73
	v_lshlrev_b32_e32 v49, v49, v86
	v_cndmask_b32_e64 v34, 0, 1, vcc_lo
	v_cmp_ne_u32_e32 vcc_lo, v39, v65
	v_lshrrev_b32_e32 v88, v53, v75
	v_lshlrev_b32_e32 v51, v51, v87
	v_or_b32_e32 v79, 0x1000, v28
	v_lshrrev_b32_e32 v89, v55, v77
	v_cndmask_b32_e64 v39, 0, 1, vcc_lo
	v_cmp_ne_u32_e32 vcc_lo, v45, v67
	v_lshlrev_b32_e32 v53, v53, v88
	v_lshrrev_b32_e32 v90, v57, v79
	v_lshlrev_b32_e32 v55, v55, v89
	v_or_b32_e32 v30, v81, v30
	v_cndmask_b32_e64 v45, 0, 1, vcc_lo
	v_cmp_ne_u32_e32 vcc_lo, v47, v69
	v_lshlrev_b32_e32 v57, v57, v90
	v_or_b32_e32 v34, v82, v34
	v_or_b32_e32 v39, v83, v39
	;; [unrolled: 1-line block ×3, first 2 shown]
	v_cndmask_b32_e64 v47, 0, 1, vcc_lo
	v_cmp_ne_u32_e32 vcc_lo, v49, v71
	v_add_nc_u32_e32 v58, 0xfffffc10, v58
	v_lshl_or_b32 v0, v0, 9, 0x7c00
	v_lshl_or_b32 v33, v33, 9, 0x7c00
	v_or_b32_e32 v47, v85, v47
	v_cndmask_b32_e64 v49, 0, 1, vcc_lo
	v_cmp_ne_u32_e32 vcc_lo, v51, v73
	v_lshl_or_b32 v80, v58, 12, v28
	v_lshl_or_b32 v13, v13, 9, 0x7c00
	;; [unrolled: 1-line block ×3, first 2 shown]
	v_or_b32_e32 v49, v86, v49
	v_cndmask_b32_e64 v51, 0, 1, vcc_lo
	v_cmp_ne_u32_e32 vcc_lo, v53, v75
	v_lshl_or_b32 v17, v17, 9, 0x7c00
	v_lshrrev_b32_e32 v14, 16, v14
	v_lshl_or_b32 v19, v19, 9, 0x7c00
	v_or_b32_e32 v51, v87, v51
	v_cndmask_b32_e64 v53, 0, 1, vcc_lo
	v_cmp_ne_u32_e32 vcc_lo, v55, v77
	v_lshrrev_b32_e32 v16, 16, v16
	v_lshl_or_b32 v21, v21, 9, 0x7c00
	v_lshl_or_b32 v24, v24, 9, 0x7c00
	v_or_b32_e32 v53, v88, v53
	v_cndmask_b32_e64 v55, 0, 1, vcc_lo
	v_cmp_ne_u32_e32 vcc_lo, v57, v79
	v_lshrrev_b32_e32 v59, 8, v5
	v_bfe_u32 v60, v5, 20, 11
	v_lshrrev_b32_e32 v18, 16, v18
	v_or_b32_e32 v55, v89, v55
	v_cndmask_b32_e64 v57, 0, 1, vcc_lo
	v_cmp_gt_i32_e32 vcc_lo, 1, v31
	v_lshrrev_b32_e32 v22, 16, v22
	v_lshl_or_b32 v26, v26, 9, 0x7c00
	v_and_or_b32 v4, 0xffe, v59, v4
	v_or_b32_e32 v57, v90, v57
	v_cndmask_b32_e32 v30, v62, v30, vcc_lo
	v_cmp_gt_i32_e32 vcc_lo, 1, v35
	v_lshrrev_b32_e32 v20, 16, v20
	v_lshrrev_b32_e32 v25, 16, v25
	v_and_or_b32 v2, 0x1ff, v3, v2
	v_and_b32_e32 v61, 7, v30
	v_cndmask_b32_e32 v34, v64, v34, vcc_lo
	v_cmp_gt_i32_e32 vcc_lo, 1, v44
	v_lshrrev_b32_e32 v30, 2, v30
	v_lshrrev_b32_e32 v27, 16, v27
	v_cmp_eq_u32_e64 s0, 3, v61
	v_and_b32_e32 v62, 7, v34
	v_cndmask_b32_e32 v39, v66, v39, vcc_lo
	v_cmp_gt_i32_e32 vcc_lo, 1, v46
	v_lshrrev_b32_e32 v34, 2, v34
	v_lshrrev_b32_e32 v5, 16, v5
	v_cmp_lt_i32_e64 s1, 5, v62
	v_and_b32_e32 v63, 7, v39
	v_cndmask_b32_e32 v45, v68, v45, vcc_lo
	v_cmp_gt_i32_e32 vcc_lo, 1, v48
	v_cmp_eq_u32_e64 s2, 3, v62
	v_lshrrev_b32_e32 v39, 2, v39
	v_cmp_lt_i32_e64 s3, 5, v63
	v_and_b32_e32 v64, 7, v45
	v_cndmask_b32_e32 v47, v70, v47, vcc_lo
	v_cmp_gt_i32_e32 vcc_lo, 1, v50
	v_cmp_eq_u32_e64 s4, 3, v63
	;; [unrolled: 6-line block ×6, first 2 shown]
	v_lshrrev_b32_e32 v53, 2, v53
	v_cmp_lt_i32_e64 s13, 5, v68
	v_and_b32_e32 v69, 7, v55
	v_cndmask_b32_e32 v57, v80, v57, vcc_lo
	v_cmp_lt_i32_e32 vcc_lo, 5, v61
	v_cmp_eq_u32_e64 s14, 3, v68
	v_lshrrev_b32_e32 v55, 2, v55
	v_cmp_lt_i32_e64 s15, 5, v69
	v_cmp_eq_u32_e64 s16, 3, v69
	s_or_b32 vcc_lo, s0, vcc_lo
	v_and_b32_e32 v70, 7, v57
	v_add_co_ci_u32_e32 v30, vcc_lo, 0, v30, vcc_lo
	s_or_b32 vcc_lo, s2, s1
	v_lshrrev_b32_e32 v57, 2, v57
	v_add_co_ci_u32_e32 v34, vcc_lo, 0, v34, vcc_lo
	s_or_b32 vcc_lo, s4, s3
	v_cmp_lt_i32_e64 s17, 5, v70
	v_add_co_ci_u32_e32 v39, vcc_lo, 0, v39, vcc_lo
	s_or_b32 vcc_lo, s6, s5
	v_cmp_eq_u32_e64 s18, 3, v70
	v_add_co_ci_u32_e32 v45, vcc_lo, 0, v45, vcc_lo
	s_or_b32 vcc_lo, s8, s7
	v_add_co_ci_u32_e32 v47, vcc_lo, 0, v47, vcc_lo
	s_or_b32 vcc_lo, s10, s9
	;; [unrolled: 2-line block ×5, first 2 shown]
	v_add_co_ci_u32_e32 v55, vcc_lo, 0, v55, vcc_lo
	v_cmp_gt_i32_e32 vcc_lo, 31, v31
	v_cndmask_b32_e32 v30, 0x7c00, v30, vcc_lo
	v_cmp_gt_i32_e32 vcc_lo, 31, v35
	v_cndmask_b32_e32 v34, 0x7c00, v34, vcc_lo
	;; [unrolled: 2-line block ×9, first 2 shown]
	v_cmp_eq_u32_e32 vcc_lo, 0x40f, v31
	v_cndmask_b32_e32 v0, v30, v0, vcc_lo
	v_cmp_eq_u32_e32 vcc_lo, 0x40f, v35
	v_and_or_b32 v0, 0x8000, v32, v0
	v_cndmask_b32_e32 v30, v34, v33, vcc_lo
	v_cmp_eq_u32_e32 vcc_lo, 0x40f, v44
	v_and_b32_e32 v0, 0xffff, v0
	v_and_or_b32 v30, 0x8000, v38, v30
	v_cndmask_b32_e32 v13, v39, v13, vcc_lo
	v_cmp_eq_u32_e32 vcc_lo, 0x40f, v46
	v_lshl_or_b32 v0, v30, 16, v0
	v_and_or_b32 v13, 0x8000, v14, v13
	v_cndmask_b32_e32 v15, v45, v15, vcc_lo
	v_cmp_eq_u32_e32 vcc_lo, 0x40f, v48
	v_and_b32_e32 v13, 0xffff, v13
	v_and_or_b32 v14, 0x8000, v16, v15
	v_cndmask_b32_e32 v17, v47, v17, vcc_lo
	v_cmp_eq_u32_e32 vcc_lo, 0x40f, v50
	v_lshl_or_b32 v13, v14, 16, v13
	global_store_dword v[11:12], v0, off
	global_store_dword v[36:37], v13, off
	v_cndmask_b32_e32 v19, v49, v19, vcc_lo
	v_cmp_eq_u32_e32 vcc_lo, 0x40f, v52
	v_sub_nc_u32_e32 v11, 0x3f1, v60
	v_and_or_b32 v15, 0x8000, v18, v17
	v_or_b32_e32 v13, 0x1000, v4
	v_and_or_b32 v16, 0x8000, v20, v19
	v_cndmask_b32_e32 v21, v51, v21, vcc_lo
	v_cmp_eq_u32_e32 vcc_lo, 0x40f, v54
	v_med3_i32 v11, v11, 0, 13
	v_and_b32_e32 v15, 0xffff, v15
	v_lshrrev_b32_e32 v20, 16, v29
	v_and_or_b32 v17, 0x8000, v22, v21
	v_cndmask_b32_e32 v24, v53, v24, vcc_lo
	v_cmp_eq_u32_e32 vcc_lo, 0x40f, v56
	v_lshrrev_b32_e32 v19, v11, v13
	v_lshl_or_b32 v15, v16, 16, v15
	v_and_b32_e32 v17, 0xffff, v17
	v_and_or_b32 v18, 0x8000, v25, v24
	v_cndmask_b32_e32 v14, v55, v26, vcc_lo
	s_or_b32 vcc_lo, s18, s17
	v_lshlrev_b32_e32 v11, v11, v19
	v_add_co_ci_u32_e32 v0, vcc_lo, 0, v57, vcc_lo
	v_cmp_ne_u32_e32 vcc_lo, 0, v28
	v_lshl_or_b32 v16, v18, 16, v17
	v_lshrrev_b32_e32 v17, 16, v1
	v_lshrrev_b32_e32 v22, 8, v3
	v_add_nc_u32_e32 v21, 0xfffffc10, v60
	v_cndmask_b32_e64 v12, 0, 1, vcc_lo
	v_cmp_gt_i32_e32 vcc_lo, 31, v58
	s_waitcnt vmcnt(3)
	v_mul_f16_sdwa v18, v17, v7 dst_sel:DWORD dst_unused:UNUSED_PAD src0_sel:DWORD src1_sel:WORD_1
	v_and_or_b32 v14, 0x8000, v27, v14
	v_lshl_or_b32 v12, v12, 9, 0x7c00
	v_cndmask_b32_e32 v0, 0x7c00, v0, vcc_lo
	v_cmp_eq_u32_e32 vcc_lo, 0x40f, v58
	v_fmac_f16_e32 v18, v1, v7
	v_and_b32_e32 v14, 0xffff, v14
	v_cndmask_b32_e32 v0, v0, v12, vcc_lo
	v_cmp_ne_u32_e32 vcc_lo, v11, v13
	v_cvt_f32_f16_e32 v12, v18
	global_load_dword v18, v23, s[20:21] offset:1960
	v_bfe_u32 v23, v3, 20, 11
	v_and_or_b32 v0, 0x8000, v20, v0
	v_cndmask_b32_e64 v13, 0, 1, vcc_lo
	v_cmp_ne_u32_e32 vcc_lo, 0, v2
	v_cvt_f64_f32_e32 v[11:12], v12
	v_sub_nc_u32_e32 v20, 0x3f1, v23
	global_store_dword v[40:41], v15, off
	global_store_dword v[42:43], v16, off
	v_or_b32_e32 v13, v19, v13
	v_cndmask_b32_e64 v2, 0, 1, vcc_lo
	v_lshl_or_b32 v19, v21, 12, v4
	v_cmp_gt_i32_e32 vcc_lo, 1, v21
	v_med3_i32 v20, v20, 0, 13
	v_lshl_or_b32 v24, v0, 16, v14
	v_and_or_b32 v2, 0xffe, v22, v2
	v_cndmask_b32_e32 v19, v19, v13, vcc_lo
	v_add_co_u32 v13, vcc_lo, v42, s19
	v_or_b32_e32 v22, 0x1000, v2
	v_add_co_ci_u32_e32 v14, vcc_lo, s24, v43, vcc_lo
	v_and_b32_e32 v0, 7, v19
	v_lshrrev_b32_e32 v15, v20, v22
	global_store_dword v[13:14], v24, off
	v_mul_f64 v[11:12], v[11:12], s[22:23]
	v_cmp_lt_i32_e32 vcc_lo, 5, v0
	v_lshlrev_b32_e32 v16, v20, v15
	v_cmp_eq_u32_e64 s0, 3, v0
	v_mul_f16_sdwa v0, v1, v7 dst_sel:DWORD dst_unused:UNUSED_PAD src0_sel:DWORD src1_sel:WORD_1
	v_lshrrev_b32_e32 v1, 2, v19
	v_add_nc_u32_e32 v19, 0xfffffc10, v23
	v_cmp_ne_u32_e64 s1, v16, v22
	s_or_b32 vcc_lo, s0, vcc_lo
	v_fma_f16 v0, v7, v17, -v0
	v_add_co_ci_u32_e32 v7, vcc_lo, 0, v1, vcc_lo
	v_cndmask_b32_e64 v16, 0, 1, s1
	v_cmp_ne_u32_e32 vcc_lo, 0, v4
	v_lshl_or_b32 v20, v19, 12, v2
	v_or_b32_e32 v17, v15, v16
	v_cvt_f32_f16_e32 v15, v0
	v_cndmask_b32_e64 v4, 0, 1, vcc_lo
	v_cmp_gt_i32_e32 vcc_lo, 1, v19
	ds_read2_b32 v[0:1], v6 offset0:87 offset1:136
	v_and_or_b32 v11, 0x1ff, v12, v11
	v_cvt_f64_f32_e32 v[15:16], v15
	v_lshl_or_b32 v4, v4, 9, 0x7c00
	v_cndmask_b32_e32 v17, v20, v17, vcc_lo
	v_cmp_gt_i32_e32 vcc_lo, 31, v21
	v_lshrrev_b32_e32 v22, 8, v12
	v_bfe_u32 v23, v12, 20, 11
	v_lshrrev_b32_e32 v12, 16, v12
	v_and_b32_e32 v20, 7, v17
	v_cndmask_b32_e32 v7, 0x7c00, v7, vcc_lo
	v_cmp_ne_u32_e32 vcc_lo, 0, v11
	v_lshrrev_b32_e32 v17, 2, v17
	v_cmp_eq_u32_e64 s0, 3, v20
	v_cndmask_b32_e64 v11, 0, 1, vcc_lo
	v_cmp_eq_u32_e32 vcc_lo, 0x40f, v21
	v_cndmask_b32_e32 v4, v7, v4, vcc_lo
	v_cmp_lt_i32_e32 vcc_lo, 5, v20
	v_mul_f64 v[15:16], v[15:16], s[22:23]
	v_and_or_b32 v7, 0xffe, v22, v11
	v_sub_nc_u32_e32 v11, 0x3f1, v23
	s_waitcnt lgkmcnt(0)
	v_lshrrev_b32_e32 v20, 16, v0
	s_or_b32 vcc_lo, s0, vcc_lo
	v_and_or_b32 v4, 0x8000, v5, v4
	v_add_co_ci_u32_e32 v17, vcc_lo, 0, v17, vcc_lo
	v_or_b32_e32 v21, 0x1000, v7
	v_med3_i32 v11, v11, 0, 13
	v_cmp_ne_u32_e32 vcc_lo, 0, v2
	s_waitcnt vmcnt(3)
	v_mul_f16_sdwa v22, v20, v8 dst_sel:DWORD dst_unused:UNUSED_PAD src0_sel:DWORD src1_sel:WORD_1
	v_and_b32_e32 v4, 0xffff, v4
	v_lshrrev_b32_e32 v25, v11, v21
	v_cndmask_b32_e64 v2, 0, 1, vcc_lo
	v_cmp_gt_i32_e32 vcc_lo, 31, v19
	v_fmac_f16_e32 v22, v0, v8
	v_mul_f16_sdwa v0, v0, v8 dst_sel:DWORD dst_unused:UNUSED_PAD src0_sel:DWORD src1_sel:WORD_1
	v_lshlrev_b32_e32 v11, v11, v25
	v_lshl_or_b32 v2, v2, 9, 0x7c00
	v_cndmask_b32_e32 v17, 0x7c00, v17, vcc_lo
	v_cmp_eq_u32_e32 vcc_lo, 0x40f, v19
	v_and_or_b32 v15, 0x1ff, v16, v15
	v_cvt_f32_f16_e32 v22, v22
	v_lshrrev_b32_e32 v19, 16, v3
	v_fma_f16 v0, v8, v20, -v0
	v_cndmask_b32_e32 v17, v17, v2, vcc_lo
	v_cmp_ne_u32_e32 vcc_lo, v11, v21
	v_add_nc_u32_e32 v21, 0xfffffc10, v23
	v_cvt_f64_f32_e32 v[2:3], v22
	v_bfe_u32 v22, v16, 20, 11
	v_and_or_b32 v5, 0x8000, v19, v17
	v_cndmask_b32_e64 v11, 0, 1, vcc_lo
	v_cmp_ne_u32_e32 vcc_lo, 0, v15
	v_lshl_or_b32 v17, v21, 12, v7
	v_lshrrev_b32_e32 v19, 8, v16
	v_cvt_f32_f16_e32 v0, v0
	v_or_b32_e32 v11, v25, v11
	v_cndmask_b32_e64 v15, 0, 1, vcc_lo
	v_cmp_gt_i32_e32 vcc_lo, 1, v21
	v_lshrrev_b32_e32 v20, 16, v1
	v_lshrrev_b32_e32 v16, 16, v16
	v_and_or_b32 v15, 0xffe, v19, v15
	v_cndmask_b32_e32 v11, v17, v11, vcc_lo
	v_sub_nc_u32_e32 v17, 0x3f1, v22
	v_lshl_or_b32 v19, v5, 16, v4
	v_add_co_u32 v4, vcc_lo, v13, s19
	v_or_b32_e32 v24, 0x1000, v15
	v_med3_i32 v17, v17, 0, 13
	v_and_b32_e32 v23, 7, v11
	v_add_co_ci_u32_e32 v5, vcc_lo, s24, v14, vcc_lo
	v_mul_f64 v[2:3], v[2:3], s[22:23]
	v_lshrrev_b32_e32 v13, v17, v24
	v_cmp_lt_i32_e32 vcc_lo, 5, v23
	v_cmp_eq_u32_e64 s0, 3, v23
	v_lshrrev_b32_e32 v11, 2, v11
	global_store_dword v[4:5], v19, off
	v_lshlrev_b32_e32 v8, v17, v13
	v_add_nc_u32_e32 v17, 0xfffffc10, v22
	s_or_b32 vcc_lo, s0, vcc_lo
	s_waitcnt vmcnt(2)
	v_mul_f16_sdwa v22, v20, v10 dst_sel:DWORD dst_unused:UNUSED_PAD src0_sel:DWORD src1_sel:WORD_1
	v_add_co_ci_u32_e32 v11, vcc_lo, 0, v11, vcc_lo
	v_cmp_ne_u32_e32 vcc_lo, v8, v24
	v_fmac_f16_e32 v22, v1, v10
	v_mul_f16_sdwa v1, v1, v10 dst_sel:DWORD dst_unused:UNUSED_PAD src0_sel:DWORD src1_sel:WORD_1
	v_cndmask_b32_e64 v14, 0, 1, vcc_lo
	v_cmp_ne_u32_e32 vcc_lo, 0, v7
	v_cvt_f64_f32_e32 v[7:8], v0
	v_fma_f16 v10, v10, v20, -v1
	v_or_b32_e32 v0, v13, v14
	v_cndmask_b32_e64 v19, 0, 1, vcc_lo
	v_cmp_gt_i32_e32 vcc_lo, 31, v21
	v_lshl_or_b32 v13, v17, 12, v15
	v_and_or_b32 v2, 0x1ff, v3, v2
	v_cvt_f32_f16_e32 v10, v10
	v_lshl_or_b32 v14, v19, 9, 0x7c00
	v_cndmask_b32_e32 v11, 0x7c00, v11, vcc_lo
	v_cmp_gt_i32_e32 vcc_lo, 1, v17
	v_bfe_u32 v19, v3, 20, 11
	v_cndmask_b32_e32 v0, v13, v0, vcc_lo
	v_cmp_ne_u32_e32 vcc_lo, 0, v2
	v_lshrrev_b32_e32 v13, 8, v3
	v_lshrrev_b32_e32 v3, 16, v3
	v_cndmask_b32_e64 v2, 0, 1, vcc_lo
	v_cmp_eq_u32_e32 vcc_lo, 0x40f, v21
	v_mul_f64 v[7:8], v[7:8], s[22:23]
	v_and_or_b32 v2, 0xffe, v13, v2
	v_cndmask_b32_e32 v11, v11, v14, vcc_lo
	v_and_b32_e32 v14, 7, v0
	v_sub_nc_u32_e32 v13, 0x3f1, v19
	v_lshrrev_b32_e32 v0, 2, v0
	v_or_b32_e32 v21, 0x1000, v2
	v_add_nc_u32_e32 v19, 0xfffffc10, v19
	v_cmp_lt_i32_e32 vcc_lo, 5, v14
	v_cmp_eq_u32_e64 s0, 3, v14
	v_med3_i32 v13, v13, 0, 13
	v_and_or_b32 v14, 0x8000, v12, v11
	v_cvt_f32_f16_e32 v12, v22
	s_or_b32 vcc_lo, s0, vcc_lo
	v_lshrrev_b32_e32 v23, v13, v21
	v_add_co_ci_u32_e32 v0, vcc_lo, 0, v0, vcc_lo
	v_cmp_ne_u32_e32 vcc_lo, 0, v15
	v_and_b32_e32 v14, 0xffff, v14
	v_lshlrev_b32_e32 v13, v13, v23
	v_and_or_b32 v7, 0x1ff, v8, v7
	v_cndmask_b32_e64 v11, 0, 1, vcc_lo
	v_cmp_gt_i32_e32 vcc_lo, 31, v17
	v_lshl_or_b32 v15, v11, 9, 0x7c00
	v_cndmask_b32_e32 v0, 0x7c00, v0, vcc_lo
	v_cmp_ne_u32_e32 vcc_lo, v13, v21
	v_cvt_f64_f32_e32 v[11:12], v12
	v_bfe_u32 v21, v8, 20, 11
	v_cndmask_b32_e64 v13, 0, 1, vcc_lo
	v_cmp_eq_u32_e32 vcc_lo, 0x40f, v17
	v_lshrrev_b32_e32 v17, 8, v8
	v_lshrrev_b32_e32 v8, 16, v8
	v_or_b32_e32 v13, v23, v13
	v_cndmask_b32_e32 v0, v0, v15, vcc_lo
	v_cmp_ne_u32_e32 vcc_lo, 0, v7
	v_lshl_or_b32 v15, v19, 12, v2
	v_and_or_b32 v0, 0x8000, v16, v0
	v_cndmask_b32_e64 v7, 0, 1, vcc_lo
	v_cmp_gt_i32_e32 vcc_lo, 1, v19
	v_lshl_or_b32 v14, v0, 16, v14
	v_add_co_u32 v0, s1, v4, s19
	v_cndmask_b32_e32 v13, v15, v13, vcc_lo
	v_and_or_b32 v15, 0xffe, v17, v7
	v_sub_nc_u32_e32 v7, 0x3f1, v21
	v_mul_f64 v[11:12], v[11:12], s[22:23]
	v_add_co_ci_u32_e64 v1, s1, s24, v5, s1
	v_and_b32_e32 v16, 7, v13
	v_or_b32_e32 v17, 0x1000, v15
	v_med3_i32 v7, v7, 0, 13
	v_lshrrev_b32_e32 v4, 2, v13
	v_cmp_lt_i32_e32 vcc_lo, 5, v16
	v_cmp_eq_u32_e64 s0, 3, v16
	v_lshrrev_b32_e32 v16, v7, v17
	s_or_b32 vcc_lo, s0, vcc_lo
	v_lshlrev_b32_e32 v7, v7, v16
	v_add_co_ci_u32_e32 v13, vcc_lo, 0, v4, vcc_lo
	ds_read2_b32 v[4:5], v6 offset0:185 offset1:234
	v_cmp_ne_u32_e32 vcc_lo, v7, v17
	v_cvt_f64_f32_e32 v[6:7], v10
	v_and_or_b32 v11, 0x1ff, v12, v11
	v_add_nc_u32_e32 v10, 0xfffffc10, v21
	v_lshrrev_b32_e32 v20, 8, v12
	v_cndmask_b32_e64 v17, 0, 1, vcc_lo
	v_cmp_gt_i32_e32 vcc_lo, 31, v19
	v_bfe_u32 v21, v12, 20, 11
	v_lshrrev_b32_e32 v12, 16, v12
	v_or_b32_e32 v16, v16, v17
	v_cndmask_b32_e32 v13, 0x7c00, v13, vcc_lo
	v_cmp_ne_u32_e32 vcc_lo, 0, v11
	v_lshl_or_b32 v17, v10, 12, v15
	v_cndmask_b32_e64 v11, 0, 1, vcc_lo
	v_cmp_ne_u32_e32 vcc_lo, 0, v2
	v_and_or_b32 v11, 0xffe, v20, v11
	v_cndmask_b32_e64 v2, 0, 1, vcc_lo
	v_cmp_gt_i32_e32 vcc_lo, 1, v10
	s_waitcnt lgkmcnt(0)
	v_lshrrev_b32_e32 v20, 16, v4
	v_mul_f64 v[6:7], v[6:7], s[22:23]
	v_or_b32_e32 v23, 0x1000, v11
	v_lshl_or_b32 v2, v2, 9, 0x7c00
	v_cndmask_b32_e32 v16, v17, v16, vcc_lo
	v_sub_nc_u32_e32 v17, 0x3f1, v21
	v_cmp_eq_u32_e32 vcc_lo, 0x40f, v19
	s_waitcnt vmcnt(1)
	v_mul_f16_sdwa v24, v20, v9 dst_sel:DWORD dst_unused:UNUSED_PAD src0_sel:DWORD src1_sel:WORD_1
	v_add_nc_u32_e32 v21, 0xfffffc10, v21
	v_and_b32_e32 v22, 7, v16
	v_med3_i32 v17, v17, 0, 13
	v_cndmask_b32_e32 v2, v13, v2, vcc_lo
	v_fmac_f16_e32 v24, v4, v9
	v_mul_f16_sdwa v4, v4, v9 dst_sel:DWORD dst_unused:UNUSED_PAD src0_sel:DWORD src1_sel:WORD_1
	v_cmp_lt_i32_e32 vcc_lo, 5, v22
	v_lshrrev_b32_e32 v13, v17, v23
	v_cmp_eq_u32_e64 s0, 3, v22
	v_and_or_b32 v19, 0x8000, v3, v2
	v_lshrrev_b32_e32 v2, 2, v16
	v_cvt_f32_f16_e32 v16, v24
	v_lshlrev_b32_e32 v3, v17, v13
	s_or_b32 vcc_lo, s0, vcc_lo
	v_fma_f16 v4, v9, v20, -v4
	v_add_co_ci_u32_e32 v17, vcc_lo, 0, v2, vcc_lo
	v_cmp_ne_u32_e32 vcc_lo, v3, v23
	v_cvt_f64_f32_e32 v[2:3], v16
	v_lshl_or_b32 v16, v21, 12, v11
	v_and_or_b32 v6, 0x1ff, v7, v6
	v_cvt_f32_f16_e32 v4, v4
	v_cndmask_b32_e64 v22, 0, 1, vcc_lo
	v_cmp_ne_u32_e32 vcc_lo, 0, v15
	v_or_b32_e32 v13, v13, v22
	v_cndmask_b32_e64 v15, 0, 1, vcc_lo
	v_cmp_gt_i32_e32 vcc_lo, 31, v10
	v_bfe_u32 v22, v7, 20, 11
	v_lshl_or_b32 v15, v15, 9, 0x7c00
	v_cndmask_b32_e32 v17, 0x7c00, v17, vcc_lo
	v_cmp_gt_i32_e32 vcc_lo, 1, v21
	v_cndmask_b32_e32 v13, v16, v13, vcc_lo
	v_cmp_ne_u32_e32 vcc_lo, 0, v6
	v_lshrrev_b32_e32 v16, 8, v7
	v_mul_f64 v[2:3], v[2:3], s[22:23]
	v_and_b32_e32 v23, 7, v13
	v_cndmask_b32_e64 v6, 0, 1, vcc_lo
	v_cmp_eq_u32_e32 vcc_lo, 0x40f, v10
	v_cmp_eq_u32_e64 s0, 3, v23
	v_and_or_b32 v6, 0xffe, v16, v6
	v_cndmask_b32_e32 v10, v17, v15, vcc_lo
	v_sub_nc_u32_e32 v15, 0x3f1, v22
	v_cmp_lt_i32_e32 vcc_lo, 5, v23
	v_or_b32_e32 v16, 0x1000, v6
	v_and_or_b32 v8, 0x8000, v8, v10
	v_lshrrev_b32_e32 v10, 2, v13
	v_med3_i32 v15, v15, 0, 13
	s_or_b32 vcc_lo, s0, vcc_lo
	v_and_b32_e32 v13, 0xffff, v19
	v_add_co_ci_u32_e32 v10, vcc_lo, 0, v10, vcc_lo
	v_lshrrev_b32_e32 v17, v15, v16
	v_cmp_ne_u32_e32 vcc_lo, 0, v11
	v_lshl_or_b32 v19, v8, 16, v13
	v_and_or_b32 v2, 0x1ff, v3, v2
	v_lshlrev_b32_e32 v8, v15, v17
	v_cndmask_b32_e64 v11, 0, 1, vcc_lo
	v_cmp_gt_i32_e32 vcc_lo, 31, v21
	v_add_nc_u32_e32 v15, 0xfffffc10, v22
	v_lshl_or_b32 v11, v11, 9, 0x7c00
	v_cndmask_b32_e32 v10, 0x7c00, v10, vcc_lo
	v_cmp_ne_u32_e32 vcc_lo, v8, v16
	v_lshrrev_b32_e32 v16, 8, v3
	v_cndmask_b32_e64 v8, 0, 1, vcc_lo
	v_cmp_eq_u32_e32 vcc_lo, 0x40f, v21
	v_cndmask_b32_e32 v13, v10, v11, vcc_lo
	v_cmp_ne_u32_e32 vcc_lo, 0, v2
	v_or_b32_e32 v10, v17, v8
	v_lshl_or_b32 v11, v15, 12, v6
	v_bfe_u32 v17, v3, 20, 11
	v_cvt_f64_f32_e32 v[8:9], v4
	v_cndmask_b32_e64 v2, 0, 1, vcc_lo
	v_cmp_gt_i32_e32 vcc_lo, 1, v15
	v_and_or_b32 v24, 0x8000, v12, v13
	v_lshrrev_b32_e32 v3, 16, v3
	v_and_or_b32 v2, 0xffe, v16, v2
	v_cndmask_b32_e32 v4, v11, v10, vcc_lo
	v_sub_nc_u32_e32 v10, 0x3f1, v17
	v_lshrrev_b32_e32 v16, 16, v5
	v_add_nc_u32_e32 v17, 0xfffffc10, v17
	v_or_b32_e32 v21, 0x1000, v2
	v_and_b32_e32 v20, 7, v4
	v_med3_i32 v22, v10, 0, 13
	s_waitcnt vmcnt(0)
	v_mul_f16_sdwa v23, v16, v18 dst_sel:DWORD dst_unused:UNUSED_PAD src0_sel:DWORD src1_sel:WORD_1
	v_add_co_u32 v10, vcc_lo, v0, s19
	v_add_co_ci_u32_e32 v11, vcc_lo, s24, v1, vcc_lo
	v_lshrrev_b32_e32 v25, v22, v21
	v_cmp_lt_i32_e32 vcc_lo, 5, v20
	v_cmp_eq_u32_e64 s0, 3, v20
	v_fmac_f16_e32 v23, v5, v18
	v_lshrrev_b32_e32 v4, 2, v4
	v_lshlrev_b32_e32 v20, v22, v25
	v_mul_f64 v[8:9], v[8:9], s[22:23]
	s_or_b32 vcc_lo, s0, vcc_lo
	v_cvt_f32_f16_e32 v12, v23
	v_add_co_ci_u32_e32 v4, vcc_lo, 0, v4, vcc_lo
	v_cmp_ne_u32_e32 vcc_lo, v20, v21
	v_mul_f16_sdwa v5, v5, v18 dst_sel:DWORD dst_unused:UNUSED_PAD src0_sel:DWORD src1_sel:WORD_1
	v_cvt_f64_f32_e32 v[12:13], v12
	v_lshl_or_b32 v21, v17, 12, v2
	v_cndmask_b32_e64 v20, 0, 1, vcc_lo
	v_cmp_ne_u32_e32 vcc_lo, 0, v6
	v_fma_f16 v5, v18, v16, -v5
	v_lshrrev_b32_e32 v18, 16, v7
	v_or_b32_e32 v20, v25, v20
	v_cndmask_b32_e64 v6, 0, 1, vcc_lo
	v_cmp_gt_i32_e32 vcc_lo, 31, v15
	v_cvt_f32_f16_e32 v5, v5
	v_lshl_or_b32 v6, v6, 9, 0x7c00
	v_cndmask_b32_e32 v4, 0x7c00, v4, vcc_lo
	v_cmp_gt_i32_e32 vcc_lo, 1, v17
	v_and_or_b32 v8, 0x1ff, v9, v8
	v_cndmask_b32_e32 v16, v21, v20, vcc_lo
	v_cmp_eq_u32_e32 vcc_lo, 0x40f, v15
	v_and_b32_e32 v20, 7, v16
	v_cndmask_b32_e32 v15, v4, v6, vcc_lo
	v_mul_f64 v[6:7], v[12:13], s[22:23]
	v_cvt_f64_f32_e32 v[4:5], v5
	v_cmp_ne_u32_e32 vcc_lo, 0, v8
	v_lshrrev_b32_e32 v12, 8, v9
	v_bfe_u32 v13, v9, 20, 11
	v_cmp_eq_u32_e64 s0, 3, v20
	v_lshrrev_b32_e32 v16, 2, v16
	v_cndmask_b32_e64 v8, 0, 1, vcc_lo
	v_cmp_lt_i32_e32 vcc_lo, 5, v20
	v_and_or_b32 v15, 0x8000, v18, v15
	v_and_b32_e32 v18, 0xffff, v24
	v_lshrrev_b32_e32 v9, 16, v9
	v_and_or_b32 v8, 0xffe, v12, v8
	v_sub_nc_u32_e32 v12, 0x3f1, v13
	s_or_b32 vcc_lo, s0, vcc_lo
	v_lshl_or_b32 v15, v15, 16, v18
	v_add_co_ci_u32_e32 v16, vcc_lo, 0, v16, vcc_lo
	v_or_b32_e32 v18, 0x1000, v8
	v_med3_i32 v12, v12, 0, 13
	v_cmp_ne_u32_e32 vcc_lo, 0, v2
	v_add_nc_u32_e32 v13, 0xfffffc10, v13
	v_and_or_b32 v6, 0x1ff, v7, v6
	v_mul_f64 v[4:5], v[4:5], s[22:23]
	v_lshrrev_b32_e32 v20, v12, v18
	v_cndmask_b32_e64 v2, 0, 1, vcc_lo
	v_cmp_gt_i32_e32 vcc_lo, 31, v17
	v_lshrrev_b32_e32 v21, 8, v7
	v_bfe_u32 v22, v7, 20, 11
	v_lshlrev_b32_e32 v12, v12, v20
	v_lshl_or_b32 v2, v2, 9, 0x7c00
	v_cndmask_b32_e32 v16, 0x7c00, v16, vcc_lo
	v_cmp_ne_u32_e32 vcc_lo, 0, v6
	v_lshrrev_b32_e32 v7, 16, v7
	v_cndmask_b32_e64 v6, 0, 1, vcc_lo
	v_cmp_ne_u32_e32 vcc_lo, v12, v18
	v_sub_nc_u32_e32 v18, 0x3f1, v22
	v_and_or_b32 v6, 0xffe, v21, v6
	v_cndmask_b32_e64 v12, 0, 1, vcc_lo
	v_cmp_eq_u32_e32 vcc_lo, 0x40f, v17
	v_med3_i32 v18, v18, 0, 13
	v_and_or_b32 v4, 0x1ff, v5, v4
	v_or_b32_e32 v17, 0x1000, v6
	v_or_b32_e32 v12, v20, v12
	v_cndmask_b32_e32 v2, v16, v2, vcc_lo
	v_lshl_or_b32 v16, v13, 12, v8
	v_cmp_gt_i32_e32 vcc_lo, 1, v13
	v_lshrrev_b32_e32 v20, 8, v5
	v_bfe_u32 v21, v5, 20, 11
	v_and_or_b32 v2, 0x8000, v3, v2
	v_lshrrev_b32_e32 v5, 16, v5
	v_cndmask_b32_e32 v12, v16, v12, vcc_lo
	v_lshrrev_b32_e32 v16, v18, v17
	v_cmp_ne_u32_e32 vcc_lo, 0, v4
	v_and_b32_e32 v23, 7, v12
	v_lshlrev_b32_e32 v18, v18, v16
	v_cndmask_b32_e64 v4, 0, 1, vcc_lo
	v_lshrrev_b32_e32 v12, 2, v12
	v_cmp_lt_i32_e32 vcc_lo, 5, v23
	v_cmp_ne_u32_e64 s0, v18, v17
	v_and_or_b32 v3, 0xffe, v20, v4
	v_sub_nc_u32_e32 v4, 0x3f1, v21
	v_add_nc_u32_e32 v20, 0xfffffc10, v22
	v_cndmask_b32_e64 v17, 0, 1, s0
	v_cmp_eq_u32_e64 s0, 3, v23
	v_or_b32_e32 v18, 0x1000, v3
	v_med3_i32 v4, v4, 0, 13
	v_lshl_or_b32 v22, v20, 12, v6
	v_or_b32_e32 v16, v16, v17
	s_or_b32 vcc_lo, s0, vcc_lo
	v_add_co_ci_u32_e32 v12, vcc_lo, 0, v12, vcc_lo
	v_lshrrev_b32_e32 v17, v4, v18
	v_cmp_gt_i32_e32 vcc_lo, 1, v20
	v_lshlrev_b32_e32 v4, v4, v17
	v_cndmask_b32_e32 v16, v22, v16, vcc_lo
	v_cmp_ne_u32_e32 vcc_lo, 0, v8
	v_cndmask_b32_e64 v8, 0, 1, vcc_lo
	v_cmp_ne_u32_e32 vcc_lo, v4, v18
	v_add_nc_u32_e32 v18, 0xfffffc10, v21
	v_and_b32_e32 v21, 7, v16
	v_lshl_or_b32 v8, v8, 9, 0x7c00
	v_cndmask_b32_e64 v4, 0, 1, vcc_lo
	v_cmp_gt_i32_e32 vcc_lo, 31, v13
	v_cmp_gt_i32_e64 s1, 1, v18
	v_cmp_eq_u32_e64 s0, 3, v21
	v_or_b32_e32 v4, v17, v4
	v_lshl_or_b32 v17, v18, 12, v3
	v_cndmask_b32_e32 v12, 0x7c00, v12, vcc_lo
	v_cmp_lt_i32_e32 vcc_lo, 5, v21
	v_cndmask_b32_e64 v4, v17, v4, s1
	v_cmp_eq_u32_e64 s1, 0x40f, v13
	s_or_b32 vcc_lo, s0, vcc_lo
	v_and_b32_e32 v13, 7, v4
	v_cndmask_b32_e64 v8, v12, v8, s1
	v_lshrrev_b32_e32 v12, 2, v16
	v_lshrrev_b32_e32 v4, 2, v4
	v_cmp_gt_i32_e64 s1, 31, v20
	v_cmp_eq_u32_e64 s0, 3, v13
	v_and_or_b32 v8, 0x8000, v9, v8
	v_add_co_ci_u32_e32 v12, vcc_lo, 0, v12, vcc_lo
	v_cmp_ne_u32_e32 vcc_lo, 0, v6
	v_and_b32_e32 v9, 0xffff, v2
	v_cndmask_b32_e64 v12, 0x7c00, v12, s1
	v_cndmask_b32_e64 v6, 0, 1, vcc_lo
	v_cmp_lt_i32_e32 vcc_lo, 5, v13
	v_lshl_or_b32 v8, v8, 16, v9
	v_lshl_or_b32 v6, v6, 9, 0x7c00
	s_or_b32 vcc_lo, s0, vcc_lo
	v_add_co_ci_u32_e32 v4, vcc_lo, 0, v4, vcc_lo
	v_cmp_ne_u32_e32 vcc_lo, 0, v3
	v_cndmask_b32_e64 v3, 0, 1, vcc_lo
	v_cmp_eq_u32_e32 vcc_lo, 0x40f, v20
	v_lshl_or_b32 v3, v3, 9, 0x7c00
	v_cndmask_b32_e32 v6, v12, v6, vcc_lo
	v_cmp_gt_i32_e32 vcc_lo, 31, v18
	v_and_or_b32 v6, 0x8000, v7, v6
	v_cndmask_b32_e32 v4, 0x7c00, v4, vcc_lo
	v_cmp_eq_u32_e32 vcc_lo, 0x40f, v18
	v_and_b32_e32 v6, 0xffff, v6
	v_cndmask_b32_e32 v4, v4, v3, vcc_lo
	v_add_co_u32 v2, vcc_lo, v10, s19
	v_add_co_ci_u32_e32 v3, vcc_lo, s24, v11, vcc_lo
	v_and_or_b32 v7, 0x8000, v5, v4
	v_add_co_u32 v4, vcc_lo, v2, s19
	v_add_co_ci_u32_e32 v5, vcc_lo, s24, v3, vcc_lo
	v_lshl_or_b32 v9, v7, 16, v6
	v_add_co_u32 v6, vcc_lo, v4, s19
	v_add_co_ci_u32_e32 v7, vcc_lo, s24, v5, vcc_lo
	global_store_dword v[0:1], v14, off
	global_store_dword v[10:11], v19, off
	;; [unrolled: 1-line block ×5, first 2 shown]
.LBB0_15:
	s_endpgm
	.section	.rodata,"a",@progbits
	.p2align	6, 0x0
	.amdhsa_kernel bluestein_single_back_len539_dim1_half_op_CI_CI
		.amdhsa_group_segment_fixed_size 6468
		.amdhsa_private_segment_fixed_size 0
		.amdhsa_kernarg_size 104
		.amdhsa_user_sgpr_count 6
		.amdhsa_user_sgpr_private_segment_buffer 1
		.amdhsa_user_sgpr_dispatch_ptr 0
		.amdhsa_user_sgpr_queue_ptr 0
		.amdhsa_user_sgpr_kernarg_segment_ptr 1
		.amdhsa_user_sgpr_dispatch_id 0
		.amdhsa_user_sgpr_flat_scratch_init 0
		.amdhsa_user_sgpr_private_segment_size 0
		.amdhsa_wavefront_size32 1
		.amdhsa_uses_dynamic_stack 0
		.amdhsa_system_sgpr_private_segment_wavefront_offset 0
		.amdhsa_system_sgpr_workgroup_id_x 1
		.amdhsa_system_sgpr_workgroup_id_y 0
		.amdhsa_system_sgpr_workgroup_id_z 0
		.amdhsa_system_sgpr_workgroup_info 0
		.amdhsa_system_vgpr_workitem_id 0
		.amdhsa_next_free_vgpr 113
		.amdhsa_next_free_sgpr 25
		.amdhsa_reserve_vcc 1
		.amdhsa_reserve_flat_scratch 0
		.amdhsa_float_round_mode_32 0
		.amdhsa_float_round_mode_16_64 0
		.amdhsa_float_denorm_mode_32 3
		.amdhsa_float_denorm_mode_16_64 3
		.amdhsa_dx10_clamp 1
		.amdhsa_ieee_mode 1
		.amdhsa_fp16_overflow 0
		.amdhsa_workgroup_processor_mode 1
		.amdhsa_memory_ordered 1
		.amdhsa_forward_progress 0
		.amdhsa_shared_vgpr_count 0
		.amdhsa_exception_fp_ieee_invalid_op 0
		.amdhsa_exception_fp_denorm_src 0
		.amdhsa_exception_fp_ieee_div_zero 0
		.amdhsa_exception_fp_ieee_overflow 0
		.amdhsa_exception_fp_ieee_underflow 0
		.amdhsa_exception_fp_ieee_inexact 0
		.amdhsa_exception_int_div_zero 0
	.end_amdhsa_kernel
	.text
.Lfunc_end0:
	.size	bluestein_single_back_len539_dim1_half_op_CI_CI, .Lfunc_end0-bluestein_single_back_len539_dim1_half_op_CI_CI
                                        ; -- End function
	.section	.AMDGPU.csdata,"",@progbits
; Kernel info:
; codeLenInByte = 16416
; NumSgprs: 27
; NumVgprs: 113
; ScratchSize: 0
; MemoryBound: 0
; FloatMode: 240
; IeeeMode: 1
; LDSByteSize: 6468 bytes/workgroup (compile time only)
; SGPRBlocks: 3
; VGPRBlocks: 14
; NumSGPRsForWavesPerEU: 27
; NumVGPRsForWavesPerEU: 113
; Occupancy: 8
; WaveLimiterHint : 1
; COMPUTE_PGM_RSRC2:SCRATCH_EN: 0
; COMPUTE_PGM_RSRC2:USER_SGPR: 6
; COMPUTE_PGM_RSRC2:TRAP_HANDLER: 0
; COMPUTE_PGM_RSRC2:TGID_X_EN: 1
; COMPUTE_PGM_RSRC2:TGID_Y_EN: 0
; COMPUTE_PGM_RSRC2:TGID_Z_EN: 0
; COMPUTE_PGM_RSRC2:TIDIG_COMP_CNT: 0
	.text
	.p2alignl 6, 3214868480
	.fill 48, 4, 3214868480
	.type	__hip_cuid_13901803c37caa56,@object ; @__hip_cuid_13901803c37caa56
	.section	.bss,"aw",@nobits
	.globl	__hip_cuid_13901803c37caa56
__hip_cuid_13901803c37caa56:
	.byte	0                               ; 0x0
	.size	__hip_cuid_13901803c37caa56, 1

	.ident	"AMD clang version 19.0.0git (https://github.com/RadeonOpenCompute/llvm-project roc-6.4.0 25133 c7fe45cf4b819c5991fe208aaa96edf142730f1d)"
	.section	".note.GNU-stack","",@progbits
	.addrsig
	.addrsig_sym __hip_cuid_13901803c37caa56
	.amdgpu_metadata
---
amdhsa.kernels:
  - .args:
      - .actual_access:  read_only
        .address_space:  global
        .offset:         0
        .size:           8
        .value_kind:     global_buffer
      - .actual_access:  read_only
        .address_space:  global
        .offset:         8
        .size:           8
        .value_kind:     global_buffer
      - .actual_access:  read_only
        .address_space:  global
        .offset:         16
        .size:           8
        .value_kind:     global_buffer
      - .actual_access:  read_only
        .address_space:  global
        .offset:         24
        .size:           8
        .value_kind:     global_buffer
      - .actual_access:  read_only
        .address_space:  global
        .offset:         32
        .size:           8
        .value_kind:     global_buffer
      - .offset:         40
        .size:           8
        .value_kind:     by_value
      - .address_space:  global
        .offset:         48
        .size:           8
        .value_kind:     global_buffer
      - .address_space:  global
        .offset:         56
        .size:           8
        .value_kind:     global_buffer
      - .address_space:  global
        .offset:         64
        .size:           8
        .value_kind:     global_buffer
      - .address_space:  global
        .offset:         72
        .size:           8
        .value_kind:     global_buffer
      - .offset:         80
        .size:           4
        .value_kind:     by_value
      - .address_space:  global
        .offset:         88
        .size:           8
        .value_kind:     global_buffer
      - .address_space:  global
        .offset:         96
        .size:           8
        .value_kind:     global_buffer
    .group_segment_fixed_size: 6468
    .kernarg_segment_align: 8
    .kernarg_segment_size: 104
    .language:       OpenCL C
    .language_version:
      - 2
      - 0
    .max_flat_workgroup_size: 231
    .name:           bluestein_single_back_len539_dim1_half_op_CI_CI
    .private_segment_fixed_size: 0
    .sgpr_count:     27
    .sgpr_spill_count: 0
    .symbol:         bluestein_single_back_len539_dim1_half_op_CI_CI.kd
    .uniform_work_group_size: 1
    .uses_dynamic_stack: false
    .vgpr_count:     113
    .vgpr_spill_count: 0
    .wavefront_size: 32
    .workgroup_processor_mode: 1
amdhsa.target:   amdgcn-amd-amdhsa--gfx1030
amdhsa.version:
  - 1
  - 2
...

	.end_amdgpu_metadata
